;; amdgpu-corpus repo=zjin-lcf/HeCBench kind=compiled arch=gfx906 opt=O3
	.amdgcn_target "amdgcn-amd-amdhsa--gfx906"
	.amdhsa_code_object_version 6
	.text
	.protected	_Z2hwi13params_commonPKfPiS2_S2_S2_S2_S2_S2_S2_PfS3_S3_S3_S3_S3_S3_S3_S3_S3_S3_S3_S3_S3_S3_S3_S3_S3_S3_S3_S3_S3_ ; -- Begin function _Z2hwi13params_commonPKfPiS2_S2_S2_S2_S2_S2_S2_PfS3_S3_S3_S3_S3_S3_S3_S3_S3_S3_S3_S3_S3_S3_S3_S3_S3_S3_S3_S3_S3_
	.globl	_Z2hwi13params_commonPKfPiS2_S2_S2_S2_S2_S2_S2_PfS3_S3_S3_S3_S3_S3_S3_S3_S3_S3_S3_S3_S3_S3_S3_S3_S3_S3_S3_S3_S3_
	.p2align	8
	.type	_Z2hwi13params_commonPKfPiS2_S2_S2_S2_S2_S2_S2_PfS3_S3_S3_S3_S3_S3_S3_S3_S3_S3_S3_S3_S3_S3_S3_S3_S3_S3_S3_S3_S3_,@function
_Z2hwi13params_commonPKfPiS2_S2_S2_S2_S2_S2_S2_PfS3_S3_S3_S3_S3_S3_S3_S3_S3_S3_S3_S3_S3_S3_S3_S3_S3_S3_S3_S3_S3_: ; @_Z2hwi13params_commonPKfPiS2_S2_S2_S2_S2_S2_S2_PfS3_S3_S3_S3_S3_S3_S3_S3_S3_S3_S3_S3_S3_S3_S3_S3_S3_S3_S3_S3_S3_
; %bb.0:
	s_load_dwordx8 s[24:31], s[4:5], 0x188
	s_load_dword s35, s[4:5], 0x0
	s_load_dwordx4 s[92:95], s[4:5], 0x20
	s_load_dword s7, s[4:5], 0x38
	s_load_dwordx4 s[0:3], s[4:5], 0x1c8
	s_load_dwordx2 s[16:17], s[4:5], 0x1d8
	s_load_dwordx8 s[8:15], s[4:5], 0x1a8
	s_load_dwordx4 s[44:47], s[4:5], 0x4c
	s_waitcnt lgkmcnt(0)
	s_cmp_lt_i32 s6, s7
	s_cselect_b64 s[18:19], -1, 0
	s_and_b64 s[20:21], s[18:19], exec
	s_cselect_b32 s7, 0, s7
	s_sub_i32 s48, s6, s7
	s_and_b64 s[20:21], s[18:19], exec
	s_cselect_b32 s52, s8, s0
	s_mul_i32 s0, s48, s46
	s_cselect_b32 s23, s27, s11
	s_cselect_b32 s26, s26, s10
	;; [unrolled: 1-line block ×7, first 2 shown]
	s_ashr_i32 s1, s0, 31
	s_and_b64 s[8:9], s[18:19], exec
	s_cselect_b32 s27, s3, s17
	s_cselect_b32 s34, s2, s16
	s_lshl_b64 s[56:57], s[0:1], 2
	s_add_u32 s33, s34, s56
	s_addc_u32 s22, s27, s57
	s_cmp_lg_u32 s35, 0
	s_cbranch_scc0 .LBB0_166
; %bb.1:
	s_load_dwordx8 s[8:15], s[4:5], 0x260
                                        ; implicit-def: $vgpr23 : SGPR spill to VGPR lane
	s_load_dwordx8 s[36:43], s[4:5], 0x220
	s_load_dwordx8 s[76:83], s[4:5], 0x200
	;; [unrolled: 1-line block ×3, first 2 shown]
	v_writelane_b32 v23, s47, 0
	s_ashr_i32 s49, s48, 31
	s_waitcnt lgkmcnt(0)
	v_writelane_b32 v23, s8, 1
	v_writelane_b32 v23, s9, 2
	;; [unrolled: 1-line block ×8, first 2 shown]
	s_load_dwordx8 s[8:15], s[4:5], 0x240
	s_or_b32 s4, s4, 4
	s_waitcnt lgkmcnt(0)
	v_writelane_b32 v23, s8, 9
	v_writelane_b32 v23, s9, 10
	;; [unrolled: 1-line block ×8, first 2 shown]
	s_load_dwordx4 s[8:11], s[4:5], 0x5c
	s_load_dwordx2 s[0:1], s[4:5], 0x10
	s_waitcnt lgkmcnt(0)
	s_mul_i32 s12, s10, s6
	v_writelane_b32 v23, s0, 17
	v_writelane_b32 v23, s1, 18
	s_mov_b32 s0, s48
	v_writelane_b32 v23, s0, 19
	s_ashr_i32 s13, s12, 31
	v_writelane_b32 v23, s1, 20
	s_lshl_b64 s[0:1], s[48:49], 2
	s_add_u32 s2, s26, s0
	v_writelane_b32 v23, s26, 21
	s_addc_u32 s3, s23, s1
	v_writelane_b32 v23, s2, 22
	v_writelane_b32 v23, s3, 23
	;; [unrolled: 1-line block ×3, first 2 shown]
	s_add_u32 s0, s21, s0
	v_writelane_b32 v23, s20, 25
	s_addc_u32 s1, s20, s1
	v_writelane_b32 v23, s0, 26
	v_writelane_b32 v23, s1, 27
	s_load_dword s20, s[4:5], 0x6c
	s_load_dword s47, s[4:5], 0x9c
	;; [unrolled: 1-line block ×5, first 2 shown]
	s_load_dwordx2 s[0:1], s[4:5], 0x17c
	v_cmp_gt_i32_e32 vcc, s10, v0
	s_waitcnt lgkmcnt(0)
	v_writelane_b32 v23, s0, 28
	v_writelane_b32 v23, s1, 29
	s_load_dwordx4 s[48:51], s[4:5], 0x11c
	s_load_dwordx2 s[0:1], s[4:5], 0x15c
	s_load_dwordx4 s[28:31], s[4:5], 0x16c
	s_load_dwordx8 s[84:91], s[4:5], 0x7c
	s_load_dwordx8 s[60:67], s[4:5], 0x13c
	s_and_saveexec_b64 s[2:3], vcc
	s_cbranch_execz .LBB0_4
; %bb.2:
	s_abs_i32 s11, s8
	v_cvt_f32_u32_e32 v1, s11
	v_readlane_b32 s14, v23, 26
	v_readlane_b32 s15, v23, 27
	s_load_dword s17, s[14:15], 0x0
	v_rcp_iflag_f32_e32 v1, v1
	v_readlane_b32 s14, v23, 22
	v_readlane_b32 s15, v23, 23
	s_load_dword s18, s[14:15], 0x0
	s_nop 0
	s_load_dwordx2 s[14:15], s[4:5], 0x10
	v_mul_f32_e32 v1, 0x4f7ffffe, v1
	v_cvt_u32_f32_e32 v1, v1
	s_sub_i32 s21, 0, s11
	s_ashr_i32 s16, s8, 31
	s_waitcnt lgkmcnt(0)
	s_mov_b64 s[58:59], s[14:15]
	v_mul_lo_u32 v3, s21, v1
	s_not_b32 s19, s58
	s_sub_i32 s18, s18, s58
	s_lshl_b64 s[14:15], s[12:13], 2
	v_mul_hi_u32 v3, v1, v3
	s_add_i32 s17, s17, s19
	s_add_i32 s18, s18, -2
	s_add_u32 s14, s68, s14
	v_lshlrev_b32_e32 v2, 2, v0
	s_addc_u32 s15, s69, s15
	v_mov_b32_e32 v4, s15
	v_add_u32_e32 v3, v1, v3
	v_add_co_u32_e32 v1, vcc, s14, v2
	v_addc_co_u32_e32 v2, vcc, 0, v4, vcc
	s_mov_b64 s[14:15], 0
	v_mov_b32_e32 v4, s8
	v_mov_b32_e32 v5, s25
	;; [unrolled: 1-line block ×3, first 2 shown]
.LBB0_3:                                ; =>This Inner Loop Header: Depth=1
	v_add_u32_e32 v7, 1, v6
	v_not_b32_e32 v8, v6
	v_max_i32_e32 v8, v7, v8
	v_mul_hi_u32 v10, v8, v3
	v_ashrrev_i32_e32 v9, 31, v7
	v_xor_b32_e32 v9, s16, v9
	v_add_u32_e32 v6, 0x100, v6
	v_mul_lo_u32 v11, v10, s11
	v_add_u32_e32 v12, 1, v10
	v_sub_u32_e32 v8, v8, v11
	v_subrev_u32_e32 v11, s11, v8
	v_cmp_le_u32_e32 vcc, s11, v8
	v_cndmask_b32_e32 v10, v10, v12, vcc
	v_cndmask_b32_e32 v8, v8, v11, vcc
	v_add_u32_e32 v11, 1, v10
	v_cmp_le_u32_e32 vcc, s11, v8
	v_cndmask_b32_e32 v8, v10, v11, vcc
	v_xor_b32_e32 v8, v8, v9
	v_sub_u32_e32 v8, v8, v9
	v_mul_lo_u32 v9, v8, s8
	v_add_u32_e32 v8, s17, v8
	v_sub_u32_e32 v7, v7, v9
	v_cmp_eq_u32_e32 vcc, 0, v7
	v_cndmask_b32_e32 v7, v7, v4, vcc
	v_subbrev_co_u32_e32 v8, vcc, 0, v8, vcc
	v_mul_lo_u32 v8, v8, s94
	v_add3_u32 v7, s18, v7, v8
	v_ashrrev_i32_e32 v8, 31, v7
	v_lshlrev_b64 v[7:8], 2, v[7:8]
	v_add_co_u32_e32 v7, vcc, s24, v7
	v_addc_co_u32_e32 v8, vcc, v5, v8, vcc
	global_load_dword v7, v[7:8], off
	v_cmp_le_i32_e32 vcc, s10, v6
	s_or_b64 s[14:15], vcc, s[14:15]
	s_waitcnt vmcnt(0)
	global_store_dword v[1:2], v7, off
	v_add_co_u32_e32 v1, vcc, 0x400, v1
	v_addc_co_u32_e32 v2, vcc, 0, v2, vcc
	s_andn2_b64 exec, exec, s[14:15]
	s_cbranch_execnz .LBB0_3
.LBB0_4:
	s_or_b64 exec, exec, s[2:3]
	s_waitcnt lgkmcnt(0)
	s_load_dword s51, s[4:5], 0x74
	s_load_dword s63, s[4:5], 0xa4
	;; [unrolled: 1-line block ×3, first 2 shown]
	s_waitcnt lgkmcnt(0)
	v_writelane_b32 v23, s2, 30
	s_load_dword s2, s[4:5], 0xb4
	s_waitcnt lgkmcnt(0)
	v_writelane_b32 v23, s2, 31
	s_load_dword s2, s[4:5], 0xbc
	s_waitcnt lgkmcnt(0)
	v_writelane_b32 v23, s2, 32
	s_load_dword s2, s[4:5], 0xc4
	s_waitcnt lgkmcnt(0)
	v_writelane_b32 v23, s2, 33
	s_load_dword s67, s[4:5], 0xd4
	s_load_dword s91, s[4:5], 0xe4
	s_load_dword s2, s[4:5], 0xec
	s_waitcnt lgkmcnt(0)
	v_writelane_b32 v23, s2, 34
	s_load_dword s2, s[4:5], 0xf4
	s_waitcnt lgkmcnt(0)
	v_writelane_b32 v23, s2, 35
	;; [unrolled: 3-line block ×4, first 2 shown]
	s_load_dword s31, s[4:5], 0x114
	s_load_dword s2, s[4:5], 0x134
	s_mul_i32 s4, s46, s6
	s_ashr_i32 s5, s4, 31
	s_waitcnt vmcnt(0) lgkmcnt(0)
	s_barrier
	v_writelane_b32 v23, s2, 38
	v_cmp_gt_i32_e64 s[2:3], s46, v0
	s_mov_b64 s[10:11], exec
	v_writelane_b32 v23, s2, 39
	v_writelane_b32 v23, s3, 40
	;; [unrolled: 1-line block ×8, first 2 shown]
	s_and_b64 s[2:3], s[10:11], s[2:3]
	v_writelane_b32 v23, s42, 47
	v_writelane_b32 v23, s43, 48
	s_mov_b64 exec, s[2:3]
	s_cbranch_execz .LBB0_7
; %bb.5:
	s_abs_i32 s16, s44
	v_cvt_f32_u32_e32 v1, s16
	s_sub_i32 s18, 0, s16
	s_ashr_i32 s17, s44, 31
	s_lshl_b64 s[2:3], s[4:5], 2
	v_rcp_iflag_f32_e32 v1, v1
	v_readlane_b32 s36, v23, 9
	v_readlane_b32 s37, v23, 10
	s_add_u32 s2, s36, s2
	v_mul_f32_e32 v1, 0x4f7ffffe, v1
	v_cvt_u32_f32_e32 v4, v1
	v_lshlrev_b32_e32 v2, 2, v0
	v_readlane_b32 s38, v23, 11
	v_readlane_b32 s39, v23, 12
	v_mul_lo_u32 v1, s18, v4
	v_readlane_b32 s40, v23, 13
	v_readlane_b32 s41, v23, 14
	;; [unrolled: 1-line block ×3, first 2 shown]
	v_mul_hi_u32 v6, v4, v1
	v_readlane_b32 s43, v23, 16
	s_addc_u32 s3, s37, s3
	v_readlane_b32 s36, v23, 41
	v_mov_b32_e32 v5, s3
	v_add_co_u32_e32 v1, vcc, s2, v2
	s_mov_b64 s[14:15], 0
	v_mov_b32_e32 v3, s22
	v_readlane_b32 s37, v23, 42
	v_readlane_b32 s38, v23, 43
	;; [unrolled: 1-line block ×5, first 2 shown]
	v_addc_co_u32_e32 v2, vcc, 0, v5, vcc
	v_add_u32_e32 v4, v4, v6
	v_mov_b32_e32 v5, v0
	v_readlane_b32 s42, v23, 47
	v_readlane_b32 s43, v23, 48
.LBB0_6:                                ; =>This Inner Loop Header: Depth=1
	v_add_u32_e32 v6, 1, v5
	v_not_b32_e32 v7, v5
	v_max_i32_e32 v7, v6, v7
	v_mul_hi_u32 v9, v7, v4
	v_ashrrev_i32_e32 v8, 31, v6
	v_xor_b32_e32 v8, s17, v8
	v_add_u32_e32 v5, 0x100, v5
	v_mul_lo_u32 v10, v9, s16
	v_add_u32_e32 v11, 1, v9
	v_sub_u32_e32 v7, v7, v10
	v_subrev_u32_e32 v10, s16, v7
	v_cmp_le_u32_e32 vcc, s16, v7
	v_cndmask_b32_e32 v9, v9, v11, vcc
	v_cndmask_b32_e32 v7, v7, v10, vcc
	v_add_u32_e32 v10, 1, v9
	v_cmp_le_u32_e32 vcc, s16, v7
	v_cndmask_b32_e32 v7, v9, v10, vcc
	v_xor_b32_e32 v7, v7, v8
	v_sub_u32_e32 v9, v7, v8
	v_mul_lo_u32 v9, v9, s44
	v_sub_u32_e32 v6, v6, v9
	v_cmp_eq_u32_e32 vcc, 0, v6
	v_sub_u32_e32 v9, s44, v6
	v_subb_co_u32_e64 v7, s[2:3], v7, v8, vcc
	v_cndmask_b32_e64 v6, v9, 0, vcc
	v_xad_u32 v7, v7, -1, s44
	v_mad_u64_u32 v[6:7], s[2:3], v7, s44, v[6:7]
	v_ashrrev_i32_e32 v7, 31, v6
	v_lshlrev_b64 v[6:7], 2, v[6:7]
	v_add_co_u32_e32 v6, vcc, s33, v6
	v_addc_co_u32_e32 v7, vcc, v3, v7, vcc
	global_load_dword v6, v[6:7], off
	v_cmp_le_i32_e32 vcc, s46, v5
	s_or_b64 s[14:15], vcc, s[14:15]
	s_waitcnt vmcnt(0)
	global_store_dword v[1:2], v6, off
	v_add_co_u32_e32 v1, vcc, 0x400, v1
	v_addc_co_u32_e32 v2, vcc, 0, v2, vcc
	s_andn2_b64 exec, exec, s[14:15]
	s_cbranch_execnz .LBB0_6
.LBB0_7:
	v_writelane_b32 v23, s35, 49
	v_writelane_b32 v23, s56, 50
	;; [unrolled: 1-line block ×10, first 2 shown]
	s_or_b64 exec, exec, s[10:11]
	s_lshl_b64 s[22:23], s[12:13], 2
	s_add_u32 s21, s68, s22
	s_mul_i32 s2, s51, s6
	s_addc_u32 s27, s69, s23
	s_ashr_i32 s3, s2, 31
	v_writelane_b32 v23, s2, 59
	v_writelane_b32 v23, s3, 60
	s_waitcnt vmcnt(0)
	s_barrier
	v_cmp_gt_i32_e64 s[10:11], s51, v0
	s_mov_b64 s[2:3], exec
	v_writelane_b32 v23, s10, 61
	v_writelane_b32 v23, s11, 62
	s_and_b64 s[10:11], s[2:3], s[10:11]
	s_mov_b64 exec, s[10:11]
	s_cbranch_execz .LBB0_18
; %bb.8:
	v_readlane_b32 s10, v23, 59
	v_readlane_b32 s11, v23, 60
	s_lshl_b64 s[10:11], s[10:11], 2
	s_add_u32 s34, s70, s10
	s_addc_u32 s35, s71, s11
	s_abs_i32 s52, s20
	v_cvt_f32_u32_e32 v1, s52
	s_sub_i32 s12, 0, s52
	s_ashr_i32 s53, s20, 31
	s_sub_i32 s54, 0, s8
	v_rcp_iflag_f32_e32 v1, v1
	s_add_i32 s55, s9, s85
	s_lshl_b64 s[4:5], s[4:5], 2
	v_mov_b32_e32 v2, 0
	v_mul_f32_e32 v1, 0x4f7ffffe, v1
	v_cvt_u32_f32_e32 v1, v1
	s_mov_b64 s[10:11], 0
	v_mov_b32_e32 v8, s85
	v_mov_b32_e32 v10, s20
	v_mul_lo_u32 v3, s12, v1
	v_readlane_b32 s12, v23, 9
	v_readlane_b32 s13, v23, 10
	s_add_u32 s4, s12, s4
	v_mul_hi_u32 v3, v1, v3
	s_addc_u32 s5, s13, s5
	s_add_u32 s56, s4, -4
	s_addc_u32 s57, s5, -1
	s_sub_i32 s58, 1, s8
	s_sub_i32 s59, 0, s9
	v_add_u32_e32 v9, v1, v3
	v_mov_b32_e32 v1, v0
	v_readlane_b32 s14, v23, 11
	v_readlane_b32 s15, v23, 12
	;; [unrolled: 1-line block ×6, first 2 shown]
	s_branch .LBB0_11
.LBB0_9:                                ;   in Loop: Header=BB0_11 Depth=1
	s_or_b64 exec, exec, s[14:15]
.LBB0_10:                               ;   in Loop: Header=BB0_11 Depth=1
	s_or_b64 exec, exec, s[12:13]
	v_lshlrev_b64 v[3:4], 2, v[1:2]
	v_mov_b32_e32 v5, s35
	v_add_co_u32_e32 v3, vcc, s34, v3
	v_addc_co_u32_e32 v4, vcc, v5, v4, vcc
	v_add_u32_e32 v1, 0x100, v1
	v_cmp_le_i32_e32 vcc, s51, v1
	s_or_b64 s[10:11], vcc, s[10:11]
	global_store_dword v[3:4], v13, off
	s_andn2_b64 exec, exec, s[10:11]
	s_cbranch_execz .LBB0_18
.LBB0_11:                               ; =>This Loop Header: Depth=1
                                        ;     Child Loop BB0_14 Depth 2
                                        ;       Child Loop BB0_16 Depth 3
	v_add_u32_e32 v5, 1, v1
	v_not_b32_e32 v3, v1
	v_max_i32_e32 v4, v5, v3
	v_mul_hi_u32 v6, v4, v9
	v_ashrrev_i32_e32 v3, 31, v5
	v_xor_b32_e32 v3, s53, v3
	v_mov_b32_e32 v13, 0
	v_mul_lo_u32 v7, v6, s52
	v_add_u32_e32 v11, 1, v6
	v_sub_u32_e32 v4, v4, v7
	v_subrev_u32_e32 v7, s52, v4
	v_cmp_le_u32_e32 vcc, s52, v4
	v_cndmask_b32_e32 v6, v6, v11, vcc
	v_cndmask_b32_e32 v4, v4, v7, vcc
	v_add_u32_e32 v7, 1, v6
	v_cmp_le_u32_e32 vcc, s52, v4
	v_cndmask_b32_e32 v4, v6, v7, vcc
	v_xor_b32_e32 v4, v4, v3
	v_sub_u32_e32 v7, v4, v3
	v_mul_lo_u32 v6, v7, s20
	v_sub_u32_e32 v6, v5, v6
	v_cmp_ne_u32_e32 vcc, 0, v6
	v_addc_co_u32_e64 v5, s[4:5], v7, v8, vcc
	v_subrev_u32_e32 v7, s9, v5
	v_add_u32_e32 v7, 1, v7
	v_cmp_le_i32_e64 s[4:5], s9, v5
	v_cndmask_b32_e64 v12, 1, v7, s[4:5]
	v_min_i32_e32 v11, s45, v5
	v_cmp_le_i32_e64 s[4:5], v12, v11
	s_and_saveexec_b64 s[12:13], s[4:5]
	s_cbranch_execz .LBB0_10
; %bb.12:                               ;   in Loop: Header=BB0_11 Depth=1
	v_cndmask_b32_e64 v7, 0, 1, vcc
	v_add3_u32 v4, s55, v4, v7
	v_cndmask_b32_e32 v6, v10, v6, vcc
	v_sub_u32_e32 v3, v4, v3
	v_max_i32_e32 v5, s9, v5
	v_add_u32_e32 v6, s84, v6
	v_sub_u32_e32 v3, v3, v5
	v_mad_u64_u32 v[3:4], s[4:5], s8, v3, v[6:7]
	v_add_u32_e32 v4, s59, v5
	v_mul_lo_u32 v4, s44, v4
	v_subrev_u32_e32 v13, s8, v6
	v_add_u32_e32 v13, 1, v13
	v_cmp_le_i32_e32 vcc, s8, v6
	v_cndmask_b32_e32 v13, 1, v13, vcc
	v_min_i32_e32 v14, s44, v6
	v_max_i32_e32 v5, s8, v6
	v_cmp_le_i32_e32 vcc, v13, v14
	v_add_u32_e32 v15, s54, v5
	v_sub_u32_e32 v16, v3, v5
	v_add3_u32 v3, s58, v5, v4
	v_mov_b32_e32 v13, 0
	s_mov_b64 s[14:15], 0
	s_branch .LBB0_14
.LBB0_13:                               ;   in Loop: Header=BB0_14 Depth=2
	s_or_b64 exec, exec, s[16:17]
	v_add_u32_e32 v4, 1, v12
	v_cmp_ge_i32_e64 s[4:5], v12, v11
	v_subrev_u32_e32 v16, s8, v16
	v_add_u32_e32 v3, s44, v3
	s_or_b64 s[14:15], s[4:5], s[14:15]
	v_mov_b32_e32 v12, v4
	s_andn2_b64 exec, exec, s[14:15]
	s_cbranch_execz .LBB0_9
.LBB0_14:                               ;   Parent Loop BB0_11 Depth=1
                                        ; =>  This Loop Header: Depth=2
                                        ;       Child Loop BB0_16 Depth 3
	s_and_saveexec_b64 s[16:17], vcc
	s_cbranch_execz .LBB0_13
; %bb.15:                               ;   in Loop: Header=BB0_14 Depth=2
	v_ashrrev_i32_e32 v4, 31, v3
	v_lshlrev_b64 v[4:5], 2, v[3:4]
	v_mov_b32_e32 v6, s57
	v_add_co_u32_e64 v4, s[4:5], s56, v4
	v_addc_co_u32_e64 v5, s[4:5], v6, v5, s[4:5]
	s_mov_b64 s[18:19], 0
	v_mov_b32_e32 v6, v16
	v_mov_b32_e32 v17, v15
.LBB0_16:                               ;   Parent Loop BB0_11 Depth=1
                                        ;     Parent Loop BB0_14 Depth=2
                                        ; =>    This Inner Loop Header: Depth=3
	v_ashrrev_i32_e32 v7, 31, v6
	v_lshlrev_b64 v[18:19], 2, v[6:7]
	v_mov_b32_e32 v21, s27
	v_add_co_u32_e64 v18, s[4:5], s21, v18
	v_addc_co_u32_e64 v19, s[4:5], v21, v19, s[4:5]
	global_load_dword v20, v[4:5], off
	global_load_dword v7, v[18:19], off offset:-4
	v_add_co_u32_e64 v4, s[4:5], 4, v4
	v_add_u32_e32 v17, 1, v17
	v_addc_co_u32_e64 v5, s[4:5], 0, v5, s[4:5]
	v_cmp_ge_i32_e64 s[4:5], v17, v14
	v_add_u32_e32 v6, -1, v6
	s_or_b64 s[18:19], s[4:5], s[18:19]
	s_waitcnt vmcnt(0)
	v_fmac_f32_e32 v13, v20, v7
	s_andn2_b64 exec, exec, s[18:19]
	s_cbranch_execnz .LBB0_16
; %bb.17:                               ;   in Loop: Header=BB0_14 Depth=2
	s_or_b64 exec, exec, s[18:19]
	s_branch .LBB0_13
.LBB0_18:
	s_or_b64 exec, exec, s[2:3]
	s_mul_i32 s2, s90, s6
	s_ashr_i32 s3, s2, 31
	v_cmp_gt_i32_e64 s[10:11], s90, v0
	s_waitcnt vmcnt(0)
	s_barrier
	s_and_saveexec_b64 s[12:13], s[10:11]
	s_cbranch_execz .LBB0_23
; %bb.19:
	s_abs_i32 s16, s88
	v_cvt_f32_u32_e32 v1, s16
	s_sub_i32 s20, 0, s16
	s_add_i32 s17, s86, s8
	s_add_i32 s9, s87, s9
	v_rcp_iflag_f32_e32 v1, v1
	s_not_b32 s18, s86
	s_ashr_i32 s19, s88, 31
	s_lshl_b64 s[4:5], s[2:3], 2
	v_mul_f32_e32 v1, 0x4f7ffffe, v1
	v_cvt_u32_f32_e32 v3, v1
	s_add_u32 s4, s72, s4
	v_lshlrev_b32_e32 v1, 2, v0
	s_addc_u32 s5, s73, s5
	v_mul_lo_u32 v2, s20, v3
	v_mov_b32_e32 v4, s5
	v_add_co_u32_e32 v1, vcc, s4, v1
	v_mul_hi_u32 v5, v3, v2
	s_mov_b64 s[14:15], 0
	v_addc_co_u32_e32 v2, vcc, 0, v4, vcc
	v_add_u32_e32 v3, v3, v5
	v_mov_b32_e32 v4, s88
	v_mov_b32_e32 v5, v0
	s_branch .LBB0_21
.LBB0_20:                               ;   in Loop: Header=BB0_21 Depth=1
	s_or_b64 exec, exec, s[4:5]
	v_add_u32_e32 v5, 0x100, v5
	s_waitcnt vmcnt(0)
	global_store_dword v[1:2], v8, off
	v_add_co_u32_e32 v1, vcc, 0x400, v1
	v_cmp_le_i32_e64 s[4:5], s90, v5
	s_or_b64 s[14:15], s[4:5], s[14:15]
	v_addc_co_u32_e32 v2, vcc, 0, v2, vcc
	s_andn2_b64 exec, exec, s[14:15]
	s_cbranch_execz .LBB0_23
.LBB0_21:                               ; =>This Inner Loop Header: Depth=1
	v_add_u32_e32 v6, 1, v5
	v_not_b32_e32 v7, v5
	v_max_i32_e32 v7, v6, v7
	v_mul_hi_u32 v8, v7, v3
	v_ashrrev_i32_e32 v10, 31, v6
	v_xor_b32_e32 v10, s19, v10
	v_mul_lo_u32 v9, v8, s16
	v_add_u32_e32 v11, 1, v8
	v_sub_u32_e32 v7, v7, v9
	v_subrev_u32_e32 v9, s16, v7
	v_cmp_le_u32_e32 vcc, s16, v7
	v_cndmask_b32_e32 v8, v8, v11, vcc
	v_cndmask_b32_e32 v7, v7, v9, vcc
	v_add_u32_e32 v9, 1, v8
	v_cmp_le_u32_e32 vcc, s16, v7
	v_cndmask_b32_e32 v7, v8, v9, vcc
	v_xor_b32_e32 v7, v7, v10
	v_sub_u32_e32 v8, v7, v10
	v_mul_lo_u32 v8, v8, s88
	v_sub_u32_e32 v6, v6, v8
	v_cmp_eq_u32_e32 vcc, 0, v6
	v_subb_co_u32_e64 v7, s[4:5], v7, v10, vcc
	v_cndmask_b32_e32 v6, v6, v4, vcc
	v_cmp_lt_i32_e32 vcc, s86, v6
	v_cmp_ge_i32_e64 s[4:5], s17, v6
	s_and_b64 s[4:5], vcc, s[4:5]
	v_cmp_le_i32_e32 vcc, s87, v7
	s_and_b64 s[4:5], s[4:5], vcc
	v_cmp_gt_i32_e32 vcc, s9, v7
	s_and_b64 s[34:35], s[4:5], vcc
	v_mov_b32_e32 v8, 0
	s_and_saveexec_b64 s[4:5], s[34:35]
	s_cbranch_execz .LBB0_20
; %bb.22:                               ;   in Loop: Header=BB0_21 Depth=1
	v_subrev_u32_e32 v7, s87, v7
	v_mul_lo_u32 v7, v7, s8
	v_mov_b32_e32 v8, s27
	v_add3_u32 v6, v6, s18, v7
	v_ashrrev_i32_e32 v7, 31, v6
	v_lshlrev_b64 v[6:7], 2, v[6:7]
	v_add_co_u32_e32 v6, vcc, s21, v6
	v_addc_co_u32_e32 v7, vcc, v8, v7, vcc
	global_load_dword v8, v[6:7], off
	s_branch .LBB0_20
.LBB0_23:
	s_or_b64 exec, exec, s[12:13]
	v_mul_lo_u32 v1, v0, s88
	s_waitcnt vmcnt(0)
	s_barrier
	v_cmp_gt_i32_e64 s[4:5], s89, v0
	s_mov_b64 s[8:9], exec
                                        ; implicit-def: $vgpr22 : SGPR spill to VGPR lane
	v_writelane_b32 v23, s4, 63
	v_writelane_b32 v22, s5, 0
	s_and_b64 s[4:5], s[8:9], s[4:5]
	s_mov_b64 exec, s[4:5]
	s_cbranch_execz .LBB0_30
; %bb.24:
	s_cmp_gt_i32 s88, 0
	v_mul_lo_u32 v2, v0, s88
	s_cselect_b64 s[4:5], -1, 0
	s_lshl_b64 s[14:15], s[2:3], 2
	s_add_u32 s18, s72, s14
	v_cndmask_b32_e64 v3, 0, 1, s[4:5]
	s_addc_u32 s19, s73, s15
	s_lshl_b32 s20, s88, 8
	s_mov_b64 s[14:15], 0
	v_cmp_ne_u32_e64 s[4:5], 1, v3
	v_mov_b32_e32 v3, 0
	v_mov_b32_e32 v6, v0
	s_branch .LBB0_26
.LBB0_25:                               ;   in Loop: Header=BB0_26 Depth=1
	v_add_u32_e32 v6, 0x100, v6
	v_cmp_le_i32_e32 vcc, s89, v6
	s_or_b64 s[14:15], vcc, s[14:15]
	v_add_u32_e32 v2, s20, v2
	s_andn2_b64 exec, exec, s[14:15]
	s_cbranch_execz .LBB0_30
.LBB0_26:                               ; =>This Loop Header: Depth=1
                                        ;     Child Loop BB0_28 Depth 2
	s_and_b64 vcc, exec, s[4:5]
	s_cbranch_vccnz .LBB0_25
; %bb.27:                               ;   in Loop: Header=BB0_26 Depth=1
	v_mul_lo_u32 v7, v6, s88
	v_lshlrev_b64 v[4:5], 2, v[2:3]
	v_mov_b32_e32 v8, s19
	v_add_co_u32_e32 v4, vcc, s18, v4
	v_addc_co_u32_e32 v5, vcc, v8, v5, vcc
	v_add_u32_e32 v8, s88, v7
	v_mov_b32_e32 v9, 0
	s_mov_b64 s[16:17], 0
.LBB0_28:                               ;   Parent Loop BB0_26 Depth=1
                                        ; =>  This Inner Loop Header: Depth=2
	global_load_dword v10, v[4:5], off
	v_add_u32_e32 v7, 1, v7
	v_cmp_ge_i32_e32 vcc, v7, v8
	s_or_b64 s[16:17], vcc, s[16:17]
	s_waitcnt vmcnt(0)
	v_add_f32_e32 v9, v9, v10
	global_store_dword v[4:5], v9, off
	v_add_co_u32_e32 v4, vcc, 4, v4
	v_addc_co_u32_e32 v5, vcc, 0, v5, vcc
	s_andn2_b64 exec, exec, s[16:17]
	s_cbranch_execnz .LBB0_28
; %bb.29:                               ;   in Loop: Header=BB0_26 Depth=1
	s_or_b64 exec, exec, s[16:17]
	s_branch .LBB0_25
.LBB0_30:
	s_or_b64 exec, exec, s[8:9]
	s_lshl_b64 s[54:55], s[2:3], 2
	s_add_u32 s14, s72, s54
	s_mul_i32 s84, s63, s6
	s_addc_u32 s12, s73, s55
	s_ashr_i32 s85, s84, 31
	s_waitcnt vmcnt(0)
	s_barrier
	v_cmp_gt_i32_e64 s[4:5], s63, v0
	s_mov_b64 s[2:3], exec
	v_writelane_b32 v22, s4, 1
	v_writelane_b32 v22, s5, 2
	s_and_b64 s[4:5], s[2:3], s[4:5]
	s_mov_b64 exec, s[4:5]
	s_cbranch_execz .LBB0_33
; %bb.31:
	s_abs_i32 s8, s47
	v_cvt_f32_u32_e32 v2, s8
	s_sub_i32 s20, 0, s8
	v_readlane_b32 s4, v23, 31
	s_add_i32 s9, s4, -1
	v_rcp_iflag_f32_e32 v2, v2
	v_readlane_b32 s4, v23, 30
	s_add_i32 s16, s4, -2
	s_ashr_i32 s17, s47, 31
	v_mul_f32_e32 v2, 0x4f7ffffe, v2
	v_cvt_u32_f32_e32 v5, v2
	s_lshl_b64 s[18:19], s[84:85], 2
	s_add_u32 s18, s74, s18
	v_lshlrev_b32_e32 v3, 2, v0
	v_mul_lo_u32 v2, s20, v5
	s_addc_u32 s19, s75, s19
	v_mov_b32_e32 v6, s19
	s_mov_b64 s[4:5], 0
	v_mul_hi_u32 v7, v5, v2
	v_add_co_u32_e32 v2, vcc, s18, v3
	v_mov_b32_e32 v4, s47
	v_addc_co_u32_e32 v3, vcc, 0, v6, vcc
	v_add_u32_e32 v5, v5, v7
	v_mov_b32_e32 v6, s12
	v_mov_b32_e32 v7, v0
.LBB0_32:                               ; =>This Inner Loop Header: Depth=1
	v_add_u32_e32 v8, 1, v7
	v_not_b32_e32 v9, v7
	v_max_i32_e32 v9, v8, v9
	v_mul_hi_u32 v11, v9, v5
	v_ashrrev_i32_e32 v10, 31, v8
	v_xor_b32_e32 v10, s17, v10
	v_add_u32_e32 v7, 0x100, v7
	v_mul_lo_u32 v12, v11, s8
	v_add_u32_e32 v13, 1, v11
	v_sub_u32_e32 v9, v9, v12
	v_subrev_u32_e32 v12, s8, v9
	v_cmp_le_u32_e32 vcc, s8, v9
	v_cndmask_b32_e32 v11, v11, v13, vcc
	v_cndmask_b32_e32 v9, v9, v12, vcc
	v_add_u32_e32 v12, 1, v11
	v_cmp_le_u32_e32 vcc, s8, v9
	v_cndmask_b32_e32 v9, v11, v12, vcc
	v_xor_b32_e32 v9, v9, v10
	v_sub_u32_e32 v9, v9, v10
	v_mul_lo_u32 v10, v9, s47
	v_add_u32_e32 v9, s9, v9
	v_sub_u32_e32 v8, v8, v10
	v_cmp_eq_u32_e32 vcc, 0, v8
	v_cndmask_b32_e32 v8, v8, v4, vcc
	v_subbrev_co_u32_e32 v9, vcc, 0, v9, vcc
	v_mul_lo_u32 v9, v9, s88
	v_add3_u32 v8, s16, v8, v9
	v_ashrrev_i32_e32 v9, 31, v8
	v_lshlrev_b64 v[8:9], 2, v[8:9]
	v_add_co_u32_e32 v8, vcc, s14, v8
	v_addc_co_u32_e32 v9, vcc, v6, v9, vcc
	global_load_dword v8, v[8:9], off
	v_cmp_le_i32_e32 vcc, s63, v7
	s_or_b64 s[4:5], vcc, s[4:5]
	s_waitcnt vmcnt(0)
	global_store_dword v[2:3], v8, off
	v_add_co_u32_e32 v2, vcc, 0x400, v2
	v_addc_co_u32_e32 v3, vcc, 0, v3, vcc
	s_andn2_b64 exec, exec, s[4:5]
	s_cbranch_execnz .LBB0_32
.LBB0_33:
	s_or_b64 exec, exec, s[2:3]
	s_mul_i32 s2, s67, s6
	s_ashr_i32 s3, s2, 31
	v_cmp_gt_i32_e64 s[8:9], s67, v0
	s_waitcnt vmcnt(0)
	s_barrier
	s_and_saveexec_b64 s[4:5], s[8:9]
	s_cbranch_execz .LBB0_36
; %bb.34:
	s_abs_i32 s18, s26
	v_cvt_f32_u32_e32 v2, s18
	s_sub_i32 s27, 0, s18
	v_readlane_b32 s15, v23, 33
	s_add_i32 s19, s15, -1
	v_rcp_iflag_f32_e32 v2, v2
	v_readlane_b32 s15, v23, 32
	s_add_i32 s20, s15, -2
	s_ashr_i32 s21, s26, 31
	v_mul_f32_e32 v2, 0x4f7ffffe, v2
	v_cvt_u32_f32_e32 v5, v2
	s_lshl_b64 s[34:35], s[2:3], 2
	v_lshlrev_b32_e32 v3, 2, v0
	s_mov_b64 s[16:17], 0
	v_mul_lo_u32 v2, s27, v5
	s_add_u32 s27, s76, s34
	s_addc_u32 s34, s77, s35
	v_mov_b32_e32 v6, s34
	v_mul_hi_u32 v7, v5, v2
	v_add_co_u32_e32 v2, vcc, s27, v3
	v_mov_b32_e32 v4, s26
	v_addc_co_u32_e32 v3, vcc, 0, v6, vcc
	v_add_u32_e32 v5, v5, v7
	v_mov_b32_e32 v6, s12
	v_mov_b32_e32 v7, v0
.LBB0_35:                               ; =>This Inner Loop Header: Depth=1
	v_add_u32_e32 v8, 1, v7
	v_not_b32_e32 v9, v7
	v_max_i32_e32 v9, v8, v9
	v_mul_hi_u32 v11, v9, v5
	v_ashrrev_i32_e32 v10, 31, v8
	v_xor_b32_e32 v10, s21, v10
	v_add_u32_e32 v7, 0x100, v7
	v_mul_lo_u32 v12, v11, s18
	v_add_u32_e32 v13, 1, v11
	v_sub_u32_e32 v9, v9, v12
	v_subrev_u32_e32 v12, s18, v9
	v_cmp_le_u32_e32 vcc, s18, v9
	v_cndmask_b32_e32 v11, v11, v13, vcc
	v_cndmask_b32_e32 v9, v9, v12, vcc
	v_add_u32_e32 v12, 1, v11
	v_cmp_le_u32_e32 vcc, s18, v9
	v_cndmask_b32_e32 v9, v11, v12, vcc
	v_xor_b32_e32 v9, v9, v10
	v_sub_u32_e32 v9, v9, v10
	v_mul_lo_u32 v10, v9, s26
	v_add_u32_e32 v9, s19, v9
	v_sub_u32_e32 v8, v8, v10
	v_cmp_eq_u32_e32 vcc, 0, v8
	v_cndmask_b32_e32 v8, v8, v4, vcc
	v_subbrev_co_u32_e32 v9, vcc, 0, v9, vcc
	v_mul_lo_u32 v9, v9, s88
	v_add3_u32 v8, s20, v8, v9
	v_ashrrev_i32_e32 v9, 31, v8
	v_lshlrev_b64 v[8:9], 2, v[8:9]
	v_add_co_u32_e32 v8, vcc, s14, v8
	v_addc_co_u32_e32 v9, vcc, v6, v9, vcc
	global_load_dword v8, v[8:9], off
	v_cmp_le_i32_e32 vcc, s67, v7
	s_or_b64 s[16:17], vcc, s[16:17]
	s_waitcnt vmcnt(0)
	global_store_dword v[2:3], v8, off
	v_add_co_u32_e32 v2, vcc, 0x400, v2
	v_addc_co_u32_e32 v3, vcc, 0, v3, vcc
	s_andn2_b64 exec, exec, s[16:17]
	s_cbranch_execnz .LBB0_35
.LBB0_36:
	s_or_b64 exec, exec, s[4:5]
	s_waitcnt vmcnt(0)
	s_barrier
	s_and_saveexec_b64 s[16:17], s[8:9]
	s_cbranch_execz .LBB0_39
; %bb.37:
	s_lshl_b64 s[4:5], s[84:85], 2
	s_add_u32 s4, s74, s4
	v_lshlrev_b32_e32 v4, 2, v0
	s_addc_u32 s5, s75, s5
	v_mov_b32_e32 v3, s5
	v_add_co_u32_e32 v2, vcc, s4, v4
	s_lshl_b64 s[4:5], s[2:3], 2
	s_add_u32 s4, s76, s4
	v_addc_co_u32_e32 v3, vcc, 0, v3, vcc
	s_addc_u32 s5, s77, s5
	v_mov_b32_e32 v5, s5
	v_add_co_u32_e32 v4, vcc, s4, v4
	v_addc_co_u32_e32 v5, vcc, 0, v5, vcc
	s_mov_b64 s[18:19], 0
	v_mov_b32_e32 v6, v0
.LBB0_38:                               ; =>This Inner Loop Header: Depth=1
	global_load_dword v7, v[2:3], off
	global_load_dword v8, v[4:5], off
	v_add_co_u32_e32 v2, vcc, 0x400, v2
	v_add_u32_e32 v6, 0x100, v6
	v_addc_co_u32_e32 v3, vcc, 0, v3, vcc
	v_cmp_le_i32_e64 s[4:5], s67, v6
	s_or_b64 s[18:19], s[4:5], s[18:19]
	s_waitcnt vmcnt(0)
	v_sub_f32_e32 v7, v7, v8
	global_store_dword v[4:5], v7, off
	v_add_co_u32_e32 v4, vcc, 0x400, v4
	v_addc_co_u32_e32 v5, vcc, 0, v5, vcc
	s_andn2_b64 exec, exec, s[18:19]
	s_cbranch_execnz .LBB0_38
.LBB0_39:
	s_or_b64 exec, exec, s[16:17]
	v_cmp_gt_i32_e64 s[16:17], s26, v0
	s_waitcnt vmcnt(0)
	s_barrier
	s_and_saveexec_b64 s[20:21], s[16:17]
	s_cbranch_execz .LBB0_46
; %bb.40:
	s_cmp_gt_i32 s67, 0
	s_cselect_b64 s[4:5], -1, 0
	s_lshl_b64 s[18:19], s[2:3], 2
	s_add_u32 s18, s76, s18
	v_lshlrev_b32_e32 v2, 2, v0
	s_addc_u32 s19, s77, s19
	v_mov_b32_e32 v3, s19
	v_add_co_u32_e32 v2, vcc, s18, v2
	s_ashr_i32 s27, s26, 31
	v_cndmask_b32_e64 v4, 0, 1, s[4:5]
	v_addc_co_u32_e32 v3, vcc, 0, v3, vcc
	s_lshl_b64 s[52:53], s[26:27], 2
	s_mov_b64 s[34:35], 0
	v_cmp_ne_u32_e64 s[4:5], 1, v4
	v_mov_b32_e32 v6, v0
	s_branch .LBB0_42
.LBB0_41:                               ;   in Loop: Header=BB0_42 Depth=1
	v_add_u32_e32 v6, 0x100, v6
	v_add_co_u32_e32 v2, vcc, 0x400, v2
	v_cmp_le_i32_e64 s[18:19], s26, v6
	s_or_b64 s[34:35], s[18:19], s[34:35]
	v_addc_co_u32_e32 v3, vcc, 0, v3, vcc
	s_andn2_b64 exec, exec, s[34:35]
	s_cbranch_execz .LBB0_46
.LBB0_42:                               ; =>This Loop Header: Depth=1
                                        ;     Child Loop BB0_44 Depth 2
	s_and_b64 vcc, exec, s[4:5]
	s_cbranch_vccnz .LBB0_41
; %bb.43:                               ;   in Loop: Header=BB0_42 Depth=1
	v_mov_b32_e32 v5, v3
	v_add_u32_e32 v7, s67, v6
	v_mov_b32_e32 v8, 0
	s_mov_b64 s[18:19], 0
	v_mov_b32_e32 v4, v2
	v_mov_b32_e32 v9, v6
.LBB0_44:                               ;   Parent Loop BB0_42 Depth=1
                                        ; =>  This Inner Loop Header: Depth=2
	global_load_dword v10, v[4:5], off
	v_add_u32_e32 v9, s26, v9
	v_cmp_ge_i32_e32 vcc, v9, v7
	v_mov_b32_e32 v11, s53
	s_or_b64 s[18:19], vcc, s[18:19]
	s_waitcnt vmcnt(0)
	v_add_f32_e32 v8, v8, v10
	global_store_dword v[4:5], v8, off
	v_add_co_u32_e32 v4, vcc, s52, v4
	v_addc_co_u32_e32 v5, vcc, v5, v11, vcc
	s_andn2_b64 exec, exec, s[18:19]
	s_cbranch_execnz .LBB0_44
; %bb.45:                               ;   in Loop: Header=BB0_42 Depth=1
	s_or_b64 exec, exec, s[18:19]
	s_branch .LBB0_41
.LBB0_46:
	s_or_b64 exec, exec, s[20:21]
	s_lshl_b64 s[56:57], s[2:3], 2
	s_add_u32 s52, s76, s56
	s_addc_u32 s2, s77, s57
	v_writelane_b32 v22, s2, 3
	s_mul_i32 s2, s91, s6
	s_ashr_i32 s3, s2, 31
	v_cmp_gt_i32_e64 s[18:19], s91, v0
	s_waitcnt vmcnt(0)
	s_barrier
	s_and_saveexec_b64 s[4:5], s[18:19]
	s_cbranch_execz .LBB0_49
; %bb.47:
	s_abs_i32 s27, s95
	v_cvt_f32_u32_e32 v2, s27
	s_sub_i32 s53, 0, s27
	v_readlane_b32 s15, v23, 35
	s_add_i32 s34, s15, -1
	v_rcp_iflag_f32_e32 v2, v2
	v_readlane_b32 s15, v23, 34
	s_add_i32 s35, s15, -2
	s_ashr_i32 s58, s95, 31
	v_mul_f32_e32 v2, 0x4f7ffffe, v2
	v_cvt_u32_f32_e32 v5, v2
	s_lshl_b64 vcc, s[2:3], 2
	v_lshlrev_b32_e32 v3, 2, v0
	v_readlane_b32 s15, v22, 3
	v_mul_lo_u32 v2, s53, v5
	s_add_u32 s53, s78, vcc_lo
	s_addc_u32 s59, s79, vcc_hi
	v_mov_b32_e32 v6, s59
	v_mul_hi_u32 v7, v5, v2
	v_add_co_u32_e32 v2, vcc, s53, v3
	s_mov_b64 s[20:21], 0
	v_mov_b32_e32 v4, s95
	v_addc_co_u32_e32 v3, vcc, 0, v6, vcc
	v_add_u32_e32 v5, v5, v7
	v_mov_b32_e32 v6, s15
	v_mov_b32_e32 v7, v0
.LBB0_48:                               ; =>This Inner Loop Header: Depth=1
	v_add_u32_e32 v8, 1, v7
	v_not_b32_e32 v9, v7
	v_max_i32_e32 v9, v8, v9
	v_mul_hi_u32 v11, v9, v5
	v_ashrrev_i32_e32 v10, 31, v8
	v_xor_b32_e32 v10, s58, v10
	v_add_u32_e32 v7, 0x100, v7
	v_mul_lo_u32 v12, v11, s27
	v_add_u32_e32 v13, 1, v11
	v_sub_u32_e32 v9, v9, v12
	v_subrev_u32_e32 v12, s27, v9
	v_cmp_le_u32_e32 vcc, s27, v9
	v_cndmask_b32_e32 v11, v11, v13, vcc
	v_cndmask_b32_e32 v9, v9, v12, vcc
	v_add_u32_e32 v12, 1, v11
	v_cmp_le_u32_e32 vcc, s27, v9
	v_cndmask_b32_e32 v9, v11, v12, vcc
	v_xor_b32_e32 v9, v9, v10
	v_sub_u32_e32 v9, v9, v10
	v_mul_lo_u32 v10, v9, s95
	v_add_u32_e32 v9, s34, v9
	v_sub_u32_e32 v8, v8, v10
	v_cmp_eq_u32_e32 vcc, 0, v8
	v_cndmask_b32_e32 v8, v8, v4, vcc
	v_subbrev_co_u32_e32 v9, vcc, 0, v9, vcc
	v_mul_lo_u32 v9, v9, s26
	v_add3_u32 v8, s35, v8, v9
	v_ashrrev_i32_e32 v9, 31, v8
	v_lshlrev_b64 v[8:9], 2, v[8:9]
	v_add_co_u32_e32 v8, vcc, s52, v8
	v_addc_co_u32_e32 v9, vcc, v6, v9, vcc
	global_load_dword v8, v[8:9], off
	v_cmp_le_i32_e32 vcc, s91, v7
	s_or_b64 s[20:21], vcc, s[20:21]
	s_waitcnt vmcnt(0)
	global_store_dword v[2:3], v8, off
	v_add_co_u32_e32 v2, vcc, 0x400, v2
	v_addc_co_u32_e32 v3, vcc, 0, v3, vcc
	s_andn2_b64 exec, exec, s[20:21]
	s_cbranch_execnz .LBB0_48
.LBB0_49:
	s_or_b64 exec, exec, s[4:5]
	s_mul_i32 s42, s31, s6
	s_ashr_i32 s43, s42, 31
	v_cmp_gt_i32_e64 s[4:5], s31, v0
	s_waitcnt vmcnt(0)
	s_barrier
	s_and_saveexec_b64 s[20:21], s[4:5]
	s_cbranch_execz .LBB0_52
; %bb.50:
	s_abs_i32 s27, s7
	v_cvt_f32_u32_e32 v2, s27
	v_readlane_b32 s15, v23, 37
	s_add_i32 s34, s15, -1
	v_readlane_b32 s15, v23, 36
	v_rcp_iflag_f32_e32 v2, v2
	s_add_i32 s35, s15, -2
	s_sub_i32 s15, 0, s27
	s_ashr_i32 s53, s7, 31
	v_mul_f32_e32 v2, 0x4f7ffffe, v2
	v_cvt_u32_f32_e32 v5, v2
	s_lshl_b64 vcc, s[42:43], 2
	v_lshlrev_b32_e32 v3, 2, v0
	s_mov_b64 s[58:59], 0
	v_mul_lo_u32 v2, s15, v5
	s_add_u32 s15, s80, vcc_lo
	s_addc_u32 vcc_lo, s81, vcc_hi
	v_mov_b32_e32 v6, vcc_lo
	v_mul_hi_u32 v7, v5, v2
	v_add_co_u32_e32 v2, vcc, s15, v3
	v_readlane_b32 s15, v22, 3
	v_mov_b32_e32 v4, s7
	v_addc_co_u32_e32 v3, vcc, 0, v6, vcc
	v_add_u32_e32 v5, v5, v7
	v_mov_b32_e32 v6, s15
	v_mov_b32_e32 v7, v0
.LBB0_51:                               ; =>This Inner Loop Header: Depth=1
	v_add_u32_e32 v8, 1, v7
	v_not_b32_e32 v9, v7
	v_max_i32_e32 v9, v8, v9
	v_mul_hi_u32 v11, v9, v5
	v_ashrrev_i32_e32 v10, 31, v8
	v_xor_b32_e32 v10, s53, v10
	v_add_u32_e32 v7, 0x100, v7
	v_mul_lo_u32 v12, v11, s27
	v_add_u32_e32 v13, 1, v11
	v_sub_u32_e32 v9, v9, v12
	v_subrev_u32_e32 v12, s27, v9
	v_cmp_le_u32_e32 vcc, s27, v9
	v_cndmask_b32_e32 v11, v11, v13, vcc
	v_cndmask_b32_e32 v9, v9, v12, vcc
	v_add_u32_e32 v12, 1, v11
	v_cmp_le_u32_e32 vcc, s27, v9
	v_cndmask_b32_e32 v9, v11, v12, vcc
	v_xor_b32_e32 v9, v9, v10
	v_sub_u32_e32 v9, v9, v10
	v_mul_lo_u32 v10, v9, s7
	v_add_u32_e32 v9, s34, v9
	v_sub_u32_e32 v8, v8, v10
	v_cmp_eq_u32_e32 vcc, 0, v8
	v_cndmask_b32_e32 v8, v8, v4, vcc
	v_subbrev_co_u32_e32 v9, vcc, 0, v9, vcc
	v_mul_lo_u32 v9, v9, s26
	v_add3_u32 v8, s35, v8, v9
	v_ashrrev_i32_e32 v9, 31, v8
	v_lshlrev_b64 v[8:9], 2, v[8:9]
	v_add_co_u32_e32 v8, vcc, s52, v8
	v_addc_co_u32_e32 v9, vcc, v6, v9, vcc
	global_load_dword v8, v[8:9], off
	v_cmp_le_i32_e32 vcc, s31, v7
	s_or_b64 s[58:59], vcc, s[58:59]
	s_waitcnt vmcnt(0)
	global_store_dword v[2:3], v8, off
	v_add_co_u32_e32 v2, vcc, 0x400, v2
	v_addc_co_u32_e32 v3, vcc, 0, v3, vcc
	s_andn2_b64 exec, exec, s[58:59]
	s_cbranch_execnz .LBB0_51
.LBB0_52:
	s_or_b64 exec, exec, s[20:21]
	s_waitcnt vmcnt(0)
	s_barrier
	s_and_saveexec_b64 s[58:59], s[4:5]
	s_cbranch_execz .LBB0_55
; %bb.53:
	s_lshl_b64 s[20:21], s[2:3], 2
	s_add_u32 s15, s78, s20
	s_addc_u32 s20, s79, s21
	v_lshlrev_b32_e32 v4, 2, v0
	v_mov_b32_e32 v3, s20
	s_lshl_b64 s[20:21], s[42:43], 2
	v_add_co_u32_e32 v2, vcc, s15, v4
	s_add_u32 s15, s80, s20
	v_addc_co_u32_e32 v3, vcc, 0, v3, vcc
	s_addc_u32 s20, s81, s21
	v_mov_b32_e32 v5, s20
	v_add_co_u32_e32 v4, vcc, s15, v4
	v_addc_co_u32_e32 v5, vcc, 0, v5, vcc
	s_mov_b64 s[34:35], 0
	v_mov_b32_e32 v6, v0
.LBB0_54:                               ; =>This Inner Loop Header: Depth=1
	global_load_dword v7, v[2:3], off
	global_load_dword v8, v[4:5], off
	v_add_co_u32_e32 v2, vcc, 0x400, v2
	v_add_u32_e32 v6, 0x100, v6
	v_addc_co_u32_e32 v3, vcc, 0, v3, vcc
	v_cmp_le_i32_e64 s[20:21], s31, v6
	s_or_b64 s[34:35], s[20:21], s[34:35]
	s_waitcnt vmcnt(0)
	v_sub_f32_e32 v7, v7, v8
	global_store_dword v[4:5], v7, off
	v_add_co_u32_e32 v4, vcc, 0x400, v4
	v_addc_co_u32_e32 v5, vcc, 0, v5, vcc
	s_andn2_b64 exec, exec, s[34:35]
	s_cbranch_execnz .LBB0_54
.LBB0_55:
	s_or_b64 exec, exec, s[58:59]
	s_mul_i32 s58, s50, s6
	s_ashr_i32 s59, s58, 31
	v_cmp_gt_i32_e32 vcc, s50, v0
	s_waitcnt vmcnt(0)
	s_barrier
	s_and_saveexec_b64 s[34:35], vcc
	s_cbranch_execz .LBB0_58
; %bb.56:
	s_add_u32 s15, s68, s22
	s_addc_u32 s20, s69, s23
	v_lshlrev_b32_e32 v4, 2, v0
	v_mov_b32_e32 v3, s20
	s_lshl_b64 s[20:21], s[58:59], 2
	v_add_co_u32_e32 v2, vcc, s15, v4
	s_add_u32 s15, s82, s20
	v_addc_co_u32_e32 v3, vcc, 0, v3, vcc
	s_addc_u32 s20, s83, s21
	v_mov_b32_e32 v5, s20
	v_add_co_u32_e32 v4, vcc, s15, v4
	v_addc_co_u32_e32 v5, vcc, 0, v5, vcc
	s_mov_b64 s[22:23], 0
	v_mov_b32_e32 v6, v0
.LBB0_57:                               ; =>This Inner Loop Header: Depth=1
	global_load_dword v7, v[2:3], off
	v_add_co_u32_e32 v2, vcc, 0x400, v2
	v_add_u32_e32 v6, 0x100, v6
	v_addc_co_u32_e32 v3, vcc, 0, v3, vcc
	v_cmp_le_i32_e64 s[20:21], s50, v6
	s_or_b64 s[22:23], s[20:21], s[22:23]
	s_waitcnt vmcnt(0)
	v_mul_f32_e32 v7, v7, v7
	global_store_dword v[4:5], v7, off
	v_add_co_u32_e32 v4, vcc, 0x400, v4
	v_addc_co_u32_e32 v5, vcc, 0, v5, vcc
	s_andn2_b64 exec, exec, s[22:23]
	s_cbranch_execnz .LBB0_57
.LBB0_58:
	s_or_b64 exec, exec, s[34:35]
	s_waitcnt vmcnt(0)
	s_barrier
	s_and_saveexec_b64 s[20:21], s[10:11]
	s_cbranch_execz .LBB0_63
; %bb.59:
	s_lshl_b64 s[10:11], s[58:59], 2
	s_add_u32 s27, s82, s10
	s_addc_u32 s34, s83, s11
	s_abs_i32 s35, s88
	v_cvt_f32_u32_e32 v2, s35
	s_sub_i32 s10, 0, s35
	s_add_i32 s50, s48, s86
	s_add_i32 s49, s49, s87
	v_rcp_iflag_f32_e32 v2, v2
	s_not_b32 s53, s86
	s_ashr_i32 s58, s88, 31
	v_lshlrev_b32_e32 v3, 2, v0
	v_mul_f32_e32 v2, 0x4f7ffffe, v2
	v_cvt_u32_f32_e32 v4, v2
	s_mov_b64 s[22:23], 0
	v_mul_lo_u32 v2, s10, v4
	s_add_u32 s10, s72, s54
	s_addc_u32 s11, s73, s55
	v_mov_b32_e32 v5, s11
	v_mul_hi_u32 v6, v4, v2
	v_add_co_u32_e32 v2, vcc, s10, v3
	v_addc_co_u32_e32 v3, vcc, 0, v5, vcc
	v_add_u32_e32 v4, v4, v6
	v_mov_b32_e32 v5, s88
	v_mov_b32_e32 v6, v0
	s_branch .LBB0_61
.LBB0_60:                               ;   in Loop: Header=BB0_61 Depth=1
	s_or_b64 exec, exec, s[10:11]
	v_add_u32_e32 v6, 0x100, v6
	s_waitcnt vmcnt(0)
	global_store_dword v[2:3], v9, off
	v_add_co_u32_e32 v2, vcc, 0x400, v2
	v_cmp_le_i32_e64 s[10:11], s90, v6
	s_or_b64 s[22:23], s[10:11], s[22:23]
	v_addc_co_u32_e32 v3, vcc, 0, v3, vcc
	s_andn2_b64 exec, exec, s[22:23]
	s_cbranch_execz .LBB0_63
.LBB0_61:                               ; =>This Inner Loop Header: Depth=1
	v_add_u32_e32 v7, 1, v6
	v_not_b32_e32 v8, v6
	v_max_i32_e32 v8, v7, v8
	v_mul_hi_u32 v9, v8, v4
	v_ashrrev_i32_e32 v11, 31, v7
	v_xor_b32_e32 v11, s58, v11
	v_mul_lo_u32 v10, v9, s35
	v_add_u32_e32 v12, 1, v9
	v_sub_u32_e32 v8, v8, v10
	v_subrev_u32_e32 v10, s35, v8
	v_cmp_le_u32_e32 vcc, s35, v8
	v_cndmask_b32_e32 v9, v9, v12, vcc
	v_cndmask_b32_e32 v8, v8, v10, vcc
	v_add_u32_e32 v10, 1, v9
	v_cmp_le_u32_e32 vcc, s35, v8
	v_cndmask_b32_e32 v8, v9, v10, vcc
	v_xor_b32_e32 v8, v8, v11
	v_sub_u32_e32 v9, v8, v11
	v_mul_lo_u32 v9, v9, s88
	v_sub_u32_e32 v7, v7, v9
	v_cmp_eq_u32_e32 vcc, 0, v7
	v_subb_co_u32_e64 v8, s[10:11], v8, v11, vcc
	v_cndmask_b32_e32 v7, v7, v5, vcc
	v_cmp_lt_i32_e32 vcc, s86, v7
	v_cmp_ge_i32_e64 s[10:11], s50, v7
	s_and_b64 s[10:11], vcc, s[10:11]
	v_cmp_le_i32_e32 vcc, s87, v8
	s_and_b64 s[10:11], s[10:11], vcc
	v_cmp_gt_i32_e32 vcc, s49, v8
	s_and_b64 s[68:69], s[10:11], vcc
	v_mov_b32_e32 v9, 0
	s_and_saveexec_b64 s[10:11], s[68:69]
	s_cbranch_execz .LBB0_60
; %bb.62:                               ;   in Loop: Header=BB0_61 Depth=1
	v_subrev_u32_e32 v8, s87, v8
	v_mul_lo_u32 v8, v8, s48
	v_mov_b32_e32 v9, s34
	v_add3_u32 v7, v7, s53, v8
	v_ashrrev_i32_e32 v8, 31, v7
	v_lshlrev_b64 v[7:8], 2, v[7:8]
	v_add_co_u32_e32 v7, vcc, s27, v7
	v_addc_co_u32_e32 v8, vcc, v9, v8, vcc
	global_load_dword v9, v[7:8], off
	s_branch .LBB0_60
.LBB0_63:
	s_or_b64 exec, exec, s[20:21]
	s_waitcnt vmcnt(0)
	s_barrier
	s_mov_b64 s[20:21], exec
	v_readlane_b32 s10, v23, 63
	v_readlane_b32 s11, v22, 0
	s_and_b64 s[10:11], s[20:21], s[10:11]
	v_readlane_b32 s58, v23, 49
	s_mov_b32 s48, s12
	s_mov_b64 exec, s[10:11]
	s_cbranch_execz .LBB0_70
; %bb.64:
	s_cmp_gt_i32 s88, 0
	s_cselect_b64 s[10:11], -1, 0
	s_add_u32 s27, s72, s54
	v_cndmask_b32_e64 v2, 0, 1, s[10:11]
	s_addc_u32 s34, s73, s55
	s_lshl_b32 s35, s88, 8
	s_mov_b64 s[12:13], 0
	v_cmp_ne_u32_e64 s[10:11], 1, v2
	v_mov_b32_e32 v2, 0
	v_mov_b32_e32 v5, v0
	s_branch .LBB0_66
.LBB0_65:                               ;   in Loop: Header=BB0_66 Depth=1
	v_add_u32_e32 v5, 0x100, v5
	v_cmp_le_i32_e32 vcc, s89, v5
	s_or_b64 s[12:13], vcc, s[12:13]
	v_add_u32_e32 v1, s35, v1
	s_andn2_b64 exec, exec, s[12:13]
	s_cbranch_execz .LBB0_70
.LBB0_66:                               ; =>This Loop Header: Depth=1
                                        ;     Child Loop BB0_68 Depth 2
	s_and_b64 vcc, exec, s[10:11]
	s_cbranch_vccnz .LBB0_65
; %bb.67:                               ;   in Loop: Header=BB0_66 Depth=1
	v_mul_lo_u32 v6, v5, s88
	v_lshlrev_b64 v[3:4], 2, v[1:2]
	v_mov_b32_e32 v7, s34
	v_add_co_u32_e32 v3, vcc, s27, v3
	v_addc_co_u32_e32 v4, vcc, v7, v4, vcc
	v_add_u32_e32 v7, s88, v6
	v_mov_b32_e32 v8, 0
	s_mov_b64 s[22:23], 0
.LBB0_68:                               ;   Parent Loop BB0_66 Depth=1
                                        ; =>  This Inner Loop Header: Depth=2
	global_load_dword v9, v[3:4], off
	v_add_u32_e32 v6, 1, v6
	v_cmp_ge_i32_e32 vcc, v6, v7
	s_or_b64 s[22:23], vcc, s[22:23]
	s_waitcnt vmcnt(0)
	v_add_f32_e32 v8, v8, v9
	global_store_dword v[3:4], v8, off
	v_add_co_u32_e32 v3, vcc, 4, v3
	v_addc_co_u32_e32 v4, vcc, 0, v4, vcc
	s_andn2_b64 exec, exec, s[22:23]
	s_cbranch_execnz .LBB0_68
; %bb.69:                               ;   in Loop: Header=BB0_66 Depth=1
	s_or_b64 exec, exec, s[22:23]
	s_branch .LBB0_65
.LBB0_70:
	s_or_b64 exec, exec, s[20:21]
	s_waitcnt vmcnt(0)
	s_barrier
	s_mov_b64 s[10:11], exec
	v_readlane_b32 s12, v22, 1
	v_readlane_b32 s13, v22, 2
	s_and_b64 s[12:13], s[10:11], s[12:13]
	v_readlane_b32 s53, v23, 55
	v_readlane_b32 s54, v23, 54
	;; [unrolled: 1-line block ×4, first 2 shown]
	s_mov_b64 exec, s[12:13]
	s_cbranch_execz .LBB0_73
; %bb.71:
	s_abs_i32 s20, s47
	v_cvt_f32_u32_e32 v1, s20
	s_sub_i32 s15, 0, s20
	v_readlane_b32 s12, v23, 31
	s_add_i32 s21, s12, -1
	v_rcp_iflag_f32_e32 v1, v1
	v_readlane_b32 s12, v23, 30
	s_add_i32 s22, s12, -2
	s_ashr_i32 s23, s47, 31
	v_mul_f32_e32 v1, 0x4f7ffffe, v1
	v_cvt_u32_f32_e32 v4, v1
	s_lshl_b64 s[34:35], s[84:85], 2
	v_lshlrev_b32_e32 v2, 2, v0
	s_mov_b64 s[12:13], 0
	v_mul_lo_u32 v1, s15, v4
	s_add_u32 s15, s74, s34
	s_addc_u32 s27, s75, s35
	v_mov_b32_e32 v5, s27
	v_mul_hi_u32 v6, v4, v1
	v_add_co_u32_e32 v1, vcc, s15, v2
	v_mov_b32_e32 v3, s47
	v_addc_co_u32_e32 v2, vcc, 0, v5, vcc
	v_add_u32_e32 v4, v4, v6
	v_mov_b32_e32 v5, s48
	v_mov_b32_e32 v6, v0
.LBB0_72:                               ; =>This Inner Loop Header: Depth=1
	v_add_u32_e32 v7, 1, v6
	v_not_b32_e32 v8, v6
	v_max_i32_e32 v8, v7, v8
	v_mul_hi_u32 v10, v8, v4
	v_ashrrev_i32_e32 v9, 31, v7
	v_xor_b32_e32 v9, s23, v9
	v_add_u32_e32 v6, 0x100, v6
	v_mul_lo_u32 v11, v10, s20
	v_add_u32_e32 v12, 1, v10
	v_sub_u32_e32 v8, v8, v11
	v_subrev_u32_e32 v11, s20, v8
	v_cmp_le_u32_e32 vcc, s20, v8
	v_cndmask_b32_e32 v10, v10, v12, vcc
	v_cndmask_b32_e32 v8, v8, v11, vcc
	v_add_u32_e32 v11, 1, v10
	v_cmp_le_u32_e32 vcc, s20, v8
	v_cndmask_b32_e32 v8, v10, v11, vcc
	v_xor_b32_e32 v8, v8, v9
	v_sub_u32_e32 v8, v8, v9
	v_mul_lo_u32 v9, v8, s47
	v_add_u32_e32 v8, s21, v8
	v_sub_u32_e32 v7, v7, v9
	v_cmp_eq_u32_e32 vcc, 0, v7
	v_cndmask_b32_e32 v7, v7, v3, vcc
	v_subbrev_co_u32_e32 v8, vcc, 0, v8, vcc
	v_mul_lo_u32 v8, v8, s88
	v_add3_u32 v7, s22, v7, v8
	v_ashrrev_i32_e32 v8, 31, v7
	v_lshlrev_b64 v[7:8], 2, v[7:8]
	v_add_co_u32_e32 v7, vcc, s14, v7
	v_addc_co_u32_e32 v8, vcc, v5, v8, vcc
	global_load_dword v7, v[7:8], off
	v_cmp_le_i32_e32 vcc, s63, v6
	s_or_b64 s[12:13], vcc, s[12:13]
	s_waitcnt vmcnt(0)
	global_store_dword v[1:2], v7, off
	v_add_co_u32_e32 v1, vcc, 0x400, v1
	v_addc_co_u32_e32 v2, vcc, 0, v2, vcc
	s_andn2_b64 exec, exec, s[12:13]
	s_cbranch_execnz .LBB0_72
.LBB0_73:
	s_or_b64 exec, exec, s[10:11]
	s_waitcnt vmcnt(0)
	s_barrier
	s_and_saveexec_b64 s[10:11], s[8:9]
	v_readlane_b32 s47, v23, 0
	s_cbranch_execz .LBB0_76
; %bb.74:
	s_abs_i32 s20, s26
	v_cvt_f32_u32_e32 v1, s20
	s_sub_i32 s15, 0, s20
	v_readlane_b32 s12, v23, 33
	s_add_i32 s21, s12, -1
	v_rcp_iflag_f32_e32 v1, v1
	v_readlane_b32 s12, v23, 32
	s_add_i32 s22, s12, -2
	s_ashr_i32 s23, s26, 31
	v_mul_f32_e32 v1, 0x4f7ffffe, v1
	v_cvt_u32_f32_e32 v5, v1
	v_lshlrev_b32_e32 v2, 2, v0
	s_mov_b64 s[12:13], 0
	v_mov_b32_e32 v3, s26
	v_mul_lo_u32 v1, s15, v5
	s_add_u32 s15, s76, s56
	s_addc_u32 s27, s77, s57
	v_mov_b32_e32 v6, s27
	v_mul_hi_u32 v7, v5, v1
	v_add_co_u32_e32 v1, vcc, s15, v2
	v_mov_b32_e32 v4, s48
	v_addc_co_u32_e32 v2, vcc, 0, v6, vcc
	v_add_u32_e32 v5, v5, v7
	v_mov_b32_e32 v6, v0
.LBB0_75:                               ; =>This Inner Loop Header: Depth=1
	v_add_u32_e32 v7, 1, v6
	v_not_b32_e32 v8, v6
	v_max_i32_e32 v8, v7, v8
	v_mul_hi_u32 v10, v8, v5
	v_ashrrev_i32_e32 v9, 31, v7
	v_xor_b32_e32 v9, s23, v9
	v_add_u32_e32 v6, 0x100, v6
	v_mul_lo_u32 v11, v10, s20
	v_add_u32_e32 v12, 1, v10
	v_sub_u32_e32 v8, v8, v11
	v_subrev_u32_e32 v11, s20, v8
	v_cmp_le_u32_e32 vcc, s20, v8
	v_cndmask_b32_e32 v10, v10, v12, vcc
	v_cndmask_b32_e32 v8, v8, v11, vcc
	v_add_u32_e32 v11, 1, v10
	v_cmp_le_u32_e32 vcc, s20, v8
	v_cndmask_b32_e32 v8, v10, v11, vcc
	v_xor_b32_e32 v8, v8, v9
	v_sub_u32_e32 v8, v8, v9
	v_mul_lo_u32 v9, v8, s26
	v_add_u32_e32 v8, s21, v8
	v_sub_u32_e32 v7, v7, v9
	v_cmp_eq_u32_e32 vcc, 0, v7
	v_cndmask_b32_e32 v7, v7, v3, vcc
	v_subbrev_co_u32_e32 v8, vcc, 0, v8, vcc
	v_mul_lo_u32 v8, v8, s88
	v_add3_u32 v7, s22, v7, v8
	v_ashrrev_i32_e32 v8, 31, v7
	v_lshlrev_b64 v[7:8], 2, v[7:8]
	v_add_co_u32_e32 v7, vcc, s14, v7
	v_addc_co_u32_e32 v8, vcc, v4, v8, vcc
	global_load_dword v7, v[7:8], off
	v_cmp_le_i32_e32 vcc, s67, v6
	s_or_b64 s[12:13], vcc, s[12:13]
	s_waitcnt vmcnt(0)
	global_store_dword v[1:2], v7, off
	v_add_co_u32_e32 v1, vcc, 0x400, v1
	v_addc_co_u32_e32 v2, vcc, 0, v2, vcc
	s_andn2_b64 exec, exec, s[12:13]
	s_cbranch_execnz .LBB0_75
.LBB0_76:
	s_or_b64 exec, exec, s[10:11]
	s_waitcnt vmcnt(0)
	s_barrier
	s_and_saveexec_b64 s[10:11], s[8:9]
	s_cbranch_execz .LBB0_79
; %bb.77:
	s_lshl_b64 s[8:9], s[84:85], 2
	s_add_u32 s8, s74, s8
	v_lshlrev_b32_e32 v3, 2, v0
	s_addc_u32 s9, s75, s9
	v_mov_b32_e32 v2, s9
	v_add_co_u32_e32 v1, vcc, s8, v3
	s_add_u32 s8, s76, s56
	v_addc_co_u32_e32 v2, vcc, 0, v2, vcc
	s_addc_u32 s9, s77, s57
	v_mov_b32_e32 v4, s9
	v_add_co_u32_e32 v3, vcc, s8, v3
	v_addc_co_u32_e32 v4, vcc, 0, v4, vcc
	s_mov_b64 s[12:13], 0
	v_mov_b32_e32 v5, v0
.LBB0_78:                               ; =>This Inner Loop Header: Depth=1
	global_load_dword v6, v[1:2], off
	global_load_dword v7, v[3:4], off
	v_add_co_u32_e32 v1, vcc, 0x400, v1
	v_add_u32_e32 v5, 0x100, v5
	v_addc_co_u32_e32 v2, vcc, 0, v2, vcc
	v_cmp_le_i32_e64 s[8:9], s67, v5
	s_or_b64 s[12:13], s[8:9], s[12:13]
	s_waitcnt vmcnt(0)
	v_sub_f32_e32 v6, v6, v7
	global_store_dword v[3:4], v6, off
	v_add_co_u32_e32 v3, vcc, 0x400, v3
	v_addc_co_u32_e32 v4, vcc, 0, v4, vcc
	s_andn2_b64 exec, exec, s[12:13]
	s_cbranch_execnz .LBB0_78
.LBB0_79:
	s_or_b64 exec, exec, s[10:11]
	s_waitcnt vmcnt(0)
	s_barrier
	s_and_saveexec_b64 s[12:13], s[16:17]
	s_cbranch_execz .LBB0_86
; %bb.80:
	s_cmp_gt_i32 s67, 0
	s_cselect_b64 s[8:9], -1, 0
	s_add_u32 s10, s76, s56
	v_lshlrev_b32_e32 v1, 2, v0
	s_addc_u32 s11, s77, s57
	v_mov_b32_e32 v2, s11
	v_add_co_u32_e32 v1, vcc, s10, v1
	s_ashr_i32 s27, s26, 31
	v_cndmask_b32_e64 v3, 0, 1, s[8:9]
	v_addc_co_u32_e32 v2, vcc, 0, v2, vcc
	s_lshl_b64 s[14:15], s[26:27], 2
	s_mov_b64 s[16:17], 0
	v_cmp_ne_u32_e64 s[8:9], 1, v3
	v_mov_b32_e32 v5, v0
	s_branch .LBB0_82
.LBB0_81:                               ;   in Loop: Header=BB0_82 Depth=1
	v_add_u32_e32 v5, 0x100, v5
	v_add_co_u32_e32 v1, vcc, 0x400, v1
	v_cmp_le_i32_e64 s[10:11], s26, v5
	s_or_b64 s[16:17], s[10:11], s[16:17]
	v_addc_co_u32_e32 v2, vcc, 0, v2, vcc
	s_andn2_b64 exec, exec, s[16:17]
	s_cbranch_execz .LBB0_86
.LBB0_82:                               ; =>This Loop Header: Depth=1
                                        ;     Child Loop BB0_84 Depth 2
	s_and_b64 vcc, exec, s[8:9]
	s_cbranch_vccnz .LBB0_81
; %bb.83:                               ;   in Loop: Header=BB0_82 Depth=1
	v_mov_b32_e32 v4, v2
	v_add_u32_e32 v6, s67, v5
	v_mov_b32_e32 v7, 0
	s_mov_b64 s[10:11], 0
	v_mov_b32_e32 v3, v1
	v_mov_b32_e32 v8, v5
.LBB0_84:                               ;   Parent Loop BB0_82 Depth=1
                                        ; =>  This Inner Loop Header: Depth=2
	global_load_dword v9, v[3:4], off
	v_add_u32_e32 v8, s26, v8
	v_cmp_ge_i32_e32 vcc, v8, v6
	v_mov_b32_e32 v10, s15
	s_or_b64 s[10:11], vcc, s[10:11]
	s_waitcnt vmcnt(0)
	v_add_f32_e32 v7, v7, v9
	global_store_dword v[3:4], v7, off
	v_add_co_u32_e32 v3, vcc, s14, v3
	v_addc_co_u32_e32 v4, vcc, v4, v10, vcc
	s_andn2_b64 exec, exec, s[10:11]
	s_cbranch_execnz .LBB0_84
; %bb.85:                               ;   in Loop: Header=BB0_82 Depth=1
	s_or_b64 exec, exec, s[10:11]
	s_branch .LBB0_81
.LBB0_86:
	s_or_b64 exec, exec, s[12:13]
	s_waitcnt vmcnt(0)
	s_barrier
	s_and_saveexec_b64 s[8:9], s[18:19]
	v_readlane_b32 s56, v23, 50
	v_readlane_b32 s57, v23, 51
	s_cbranch_execz .LBB0_89
; %bb.87:
	s_abs_i32 s12, s95
	v_cvt_f32_u32_e32 v1, s12
	s_sub_i32 s18, 0, s12
	v_readlane_b32 s10, v23, 35
	s_add_i32 s13, s10, -1
	v_rcp_iflag_f32_e32 v1, v1
	v_readlane_b32 s10, v23, 34
	s_add_i32 s14, s10, -2
	s_ashr_i32 s15, s95, 31
	v_mul_f32_e32 v1, 0x4f7ffffe, v1
	v_cvt_u32_f32_e32 v4, v1
	s_lshl_b64 s[16:17], s[2:3], 2
	s_add_u32 s16, s78, s16
	v_lshlrev_b32_e32 v2, 2, v0
	v_mul_lo_u32 v1, s18, v4
	s_addc_u32 s17, s79, s17
	v_mov_b32_e32 v5, s17
	s_mov_b64 s[10:11], 0
	v_mul_hi_u32 v6, v4, v1
	v_add_co_u32_e32 v1, vcc, s16, v2
	v_readlane_b32 s16, v22, 3
	v_mov_b32_e32 v3, s95
	v_addc_co_u32_e32 v2, vcc, 0, v5, vcc
	v_add_u32_e32 v4, v4, v6
	v_mov_b32_e32 v5, s16
	v_mov_b32_e32 v6, v0
.LBB0_88:                               ; =>This Inner Loop Header: Depth=1
	v_add_u32_e32 v7, 1, v6
	v_not_b32_e32 v8, v6
	v_max_i32_e32 v8, v7, v8
	v_mul_hi_u32 v10, v8, v4
	v_ashrrev_i32_e32 v9, 31, v7
	v_xor_b32_e32 v9, s15, v9
	v_add_u32_e32 v6, 0x100, v6
	v_mul_lo_u32 v11, v10, s12
	v_add_u32_e32 v12, 1, v10
	v_sub_u32_e32 v8, v8, v11
	v_subrev_u32_e32 v11, s12, v8
	v_cmp_le_u32_e32 vcc, s12, v8
	v_cndmask_b32_e32 v10, v10, v12, vcc
	v_cndmask_b32_e32 v8, v8, v11, vcc
	v_add_u32_e32 v11, 1, v10
	v_cmp_le_u32_e32 vcc, s12, v8
	v_cndmask_b32_e32 v8, v10, v11, vcc
	v_xor_b32_e32 v8, v8, v9
	v_sub_u32_e32 v8, v8, v9
	v_mul_lo_u32 v9, v8, s95
	v_add_u32_e32 v8, s13, v8
	v_sub_u32_e32 v7, v7, v9
	v_cmp_eq_u32_e32 vcc, 0, v7
	v_cndmask_b32_e32 v7, v7, v3, vcc
	v_subbrev_co_u32_e32 v8, vcc, 0, v8, vcc
	v_mul_lo_u32 v8, v8, s26
	v_add3_u32 v7, s14, v7, v8
	v_ashrrev_i32_e32 v8, 31, v7
	v_lshlrev_b64 v[7:8], 2, v[7:8]
	v_add_co_u32_e32 v7, vcc, s52, v7
	v_addc_co_u32_e32 v8, vcc, v5, v8, vcc
	global_load_dword v7, v[7:8], off
	v_cmp_le_i32_e32 vcc, s91, v6
	s_or_b64 s[10:11], vcc, s[10:11]
	s_waitcnt vmcnt(0)
	global_store_dword v[1:2], v7, off
	v_add_co_u32_e32 v1, vcc, 0x400, v1
	v_addc_co_u32_e32 v2, vcc, 0, v2, vcc
	s_andn2_b64 exec, exec, s[10:11]
	s_cbranch_execnz .LBB0_88
.LBB0_89:
	s_or_b64 exec, exec, s[8:9]
	v_readlane_b32 s8, v23, 38
	s_mul_i32 s14, s8, s6
	s_ashr_i32 s15, s14, 31
	s_waitcnt vmcnt(0)
	s_barrier
	s_and_saveexec_b64 s[8:9], s[4:5]
	v_readlane_b32 s16, v23, 9
	v_readlane_b32 s22, v23, 15
	;; [unrolled: 1-line block ×7, first 2 shown]
	s_mov_b64 s[86:87], s[22:23]
	s_mov_b64 s[84:85], s[20:21]
	;; [unrolled: 1-line block ×3, first 2 shown]
	v_readlane_b32 s17, v23, 10
	s_cbranch_execz .LBB0_92
; %bb.90:
	s_abs_i32 s12, s7
	v_cvt_f32_u32_e32 v1, s12
	s_sub_i32 s20, 0, s12
	v_readlane_b32 s10, v23, 37
	s_add_i32 s13, s10, -1
	v_rcp_iflag_f32_e32 v1, v1
	v_readlane_b32 s10, v23, 36
	s_add_i32 s16, s10, -2
	s_ashr_i32 s17, s7, 31
	v_mul_f32_e32 v1, 0x4f7ffffe, v1
	v_cvt_u32_f32_e32 v4, v1
	s_lshl_b64 s[18:19], s[14:15], 2
	s_add_u32 s18, s36, s18
	v_lshlrev_b32_e32 v2, 2, v0
	v_mul_lo_u32 v1, s20, v4
	s_addc_u32 s19, s37, s19
	v_mov_b32_e32 v5, s19
	s_mov_b64 s[10:11], 0
	v_mul_hi_u32 v6, v4, v1
	v_add_co_u32_e32 v1, vcc, s18, v2
	v_readlane_b32 s18, v22, 3
	v_mov_b32_e32 v3, s7
	v_addc_co_u32_e32 v2, vcc, 0, v5, vcc
	v_add_u32_e32 v4, v4, v6
	v_mov_b32_e32 v5, s18
	v_mov_b32_e32 v6, v0
.LBB0_91:                               ; =>This Inner Loop Header: Depth=1
	v_add_u32_e32 v7, 1, v6
	v_not_b32_e32 v8, v6
	v_max_i32_e32 v8, v7, v8
	v_mul_hi_u32 v10, v8, v4
	v_ashrrev_i32_e32 v9, 31, v7
	v_xor_b32_e32 v9, s17, v9
	v_add_u32_e32 v6, 0x100, v6
	v_mul_lo_u32 v11, v10, s12
	v_add_u32_e32 v12, 1, v10
	v_sub_u32_e32 v8, v8, v11
	v_subrev_u32_e32 v11, s12, v8
	v_cmp_le_u32_e32 vcc, s12, v8
	v_cndmask_b32_e32 v10, v10, v12, vcc
	v_cndmask_b32_e32 v8, v8, v11, vcc
	v_add_u32_e32 v11, 1, v10
	v_cmp_le_u32_e32 vcc, s12, v8
	v_cndmask_b32_e32 v8, v10, v11, vcc
	v_xor_b32_e32 v8, v8, v9
	v_sub_u32_e32 v8, v8, v9
	v_mul_lo_u32 v9, v8, s7
	v_add_u32_e32 v8, s13, v8
	v_sub_u32_e32 v7, v7, v9
	v_cmp_eq_u32_e32 vcc, 0, v7
	v_cndmask_b32_e32 v7, v7, v3, vcc
	v_subbrev_co_u32_e32 v8, vcc, 0, v8, vcc
	v_mul_lo_u32 v8, v8, s26
	v_add3_u32 v7, s16, v7, v8
	v_ashrrev_i32_e32 v8, 31, v7
	v_lshlrev_b64 v[7:8], 2, v[7:8]
	v_add_co_u32_e32 v7, vcc, s52, v7
	v_addc_co_u32_e32 v8, vcc, v5, v8, vcc
	global_load_dword v7, v[7:8], off
	v_cmp_le_i32_e32 vcc, s31, v6
	s_or_b64 s[10:11], vcc, s[10:11]
	s_waitcnt vmcnt(0)
	global_store_dword v[1:2], v7, off
	v_add_co_u32_e32 v1, vcc, 0x400, v1
	v_addc_co_u32_e32 v2, vcc, 0, v2, vcc
	s_andn2_b64 exec, exec, s[10:11]
	s_cbranch_execnz .LBB0_91
.LBB0_92:
	s_or_b64 exec, exec, s[8:9]
	s_waitcnt vmcnt(0)
	s_barrier
	s_and_saveexec_b64 s[8:9], s[4:5]
	v_readlane_b32 s52, v23, 56
	s_cbranch_execz .LBB0_95
; %bb.93:
	s_lshl_b64 s[2:3], s[2:3], 2
	s_add_u32 s2, s78, s2
	v_lshlrev_b32_e32 v3, 2, v0
	s_addc_u32 s3, s79, s3
	v_mov_b32_e32 v2, s3
	v_add_co_u32_e32 v1, vcc, s2, v3
	s_lshl_b64 s[2:3], s[14:15], 2
	s_add_u32 s2, s36, s2
	v_addc_co_u32_e32 v2, vcc, 0, v2, vcc
	s_addc_u32 s3, s37, s3
	v_mov_b32_e32 v4, s3
	v_add_co_u32_e32 v3, vcc, s2, v3
	v_addc_co_u32_e32 v4, vcc, 0, v4, vcc
	s_mov_b64 s[2:3], 0
	v_mov_b32_e32 v5, v0
.LBB0_94:                               ; =>This Inner Loop Header: Depth=1
	global_load_dword v6, v[1:2], off
	global_load_dword v7, v[3:4], off
	v_add_co_u32_e32 v1, vcc, 0x400, v1
	v_add_u32_e32 v5, 0x100, v5
	v_addc_co_u32_e32 v2, vcc, 0, v2, vcc
	v_cmp_le_i32_e32 vcc, s31, v5
	s_or_b64 s[2:3], vcc, s[2:3]
	s_waitcnt vmcnt(0)
	v_sub_f32_e32 v6, v6, v7
	global_store_dword v[3:4], v6, off
	v_add_co_u32_e32 v3, vcc, 0x400, v3
	v_addc_co_u32_e32 v4, vcc, 0, v4, vcc
	s_andn2_b64 exec, exec, s[2:3]
	s_cbranch_execnz .LBB0_94
.LBB0_95:
	s_or_b64 exec, exec, s[8:9]
	v_cvt_f32_i32_e32 v7, s46
	s_waitcnt vmcnt(0)
	s_barrier
	s_and_saveexec_b64 s[2:3], s[4:5]
	v_readlane_b32 s72, v23, 1
	v_readlane_b32 s73, v23, 2
	;; [unrolled: 1-line block ×8, first 2 shown]
	s_cbranch_execz .LBB0_98
; %bb.96:
	s_lshl_b64 s[8:9], s[42:43], 2
	s_add_u32 s7, s80, s8
	s_addc_u32 s8, s81, s9
	v_lshlrev_b32_e32 v3, 2, v0
	v_mov_b32_e32 v2, s8
	s_lshl_b64 s[8:9], s[14:15], 2
	v_add_co_u32_e32 v1, vcc, s7, v3
	s_add_u32 s7, s36, s8
	v_addc_co_u32_e32 v2, vcc, 0, v2, vcc
	s_addc_u32 s8, s37, s9
	v_mov_b32_e32 v4, s8
	v_add_co_u32_e32 v3, vcc, s7, v3
	v_addc_co_u32_e32 v4, vcc, 0, v4, vcc
	s_mov_b64 s[10:11], 0
	s_mov_b32 s7, 0xf800000
	v_mov_b32_e32 v5, 0x260
	v_mov_b32_e32 v6, v0
.LBB0_97:                               ; =>This Inner Loop Header: Depth=1
	global_load_dword v8, v[1:2], off
	global_load_dword v9, v[3:4], off
	v_add_u32_e32 v6, 0x100, v6
	v_cmp_le_i32_e32 vcc, s31, v6
	s_or_b64 s[10:11], vcc, s[10:11]
	s_waitcnt vmcnt(1)
	v_mul_f32_e32 v8, v8, v8
	v_div_scale_f32 v10, s[8:9], v7, v7, v8
	v_div_scale_f32 v11, vcc, v8, v7, v8
	v_rcp_f32_e32 v12, v10
	v_fma_f32 v13, -v10, v12, 1.0
	v_fmac_f32_e32 v12, v13, v12
	v_mul_f32_e32 v13, v11, v12
	v_fma_f32 v14, -v10, v13, v11
	v_fmac_f32_e32 v13, v14, v12
	v_fma_f32 v10, -v10, v13, v11
	v_div_fmas_f32 v10, v10, v12, v13
	v_add_co_u32_e32 v1, vcc, 0x400, v1
	v_addc_co_u32_e32 v2, vcc, 0, v2, vcc
	v_div_fixup_f32 v8, v10, v7, v8
	s_waitcnt vmcnt(0)
	v_sub_f32_e32 v8, v9, v8
	v_cmp_ngt_f32_e32 vcc, 0, v8
	v_cndmask_b32_e32 v8, 0, v8, vcc
	v_mul_f32_e32 v9, 0x4f800000, v8
	v_cmp_gt_f32_e32 vcc, s7, v8
	v_cndmask_b32_e32 v8, v8, v9, vcc
	v_sqrt_f32_e32 v9, v8
	v_add_u32_e32 v10, -1, v9
	v_add_u32_e32 v11, 1, v9
	v_fma_f32 v12, -v10, v9, v8
	v_fma_f32 v13, -v11, v9, v8
	v_cmp_ge_f32_e64 s[8:9], 0, v12
	v_cndmask_b32_e64 v9, v9, v10, s[8:9]
	v_cmp_lt_f32_e64 s[8:9], 0, v13
	v_cndmask_b32_e64 v9, v9, v11, s[8:9]
	v_mul_f32_e32 v10, 0x37800000, v9
	v_cndmask_b32_e32 v9, v9, v10, vcc
	v_cmp_class_f32_e32 vcc, v8, v5
	v_cndmask_b32_e32 v8, v9, v8, vcc
	global_store_dword v[3:4], v8, off
	v_add_co_u32_e32 v3, vcc, 0x400, v3
	v_addc_co_u32_e32 v4, vcc, 0, v4, vcc
	s_andn2_b64 exec, exec, s[10:11]
	s_cbranch_execnz .LBB0_97
.LBB0_98:
	s_or_b64 exec, exec, s[2:3]
	s_mul_i32 s10, s62, s6
	s_ashr_i32 s11, s10, 31
	v_cmp_gt_i32_e32 vcc, s62, v0
	s_waitcnt vmcnt(0)
	s_barrier
	s_and_saveexec_b64 s[2:3], vcc
	s_cbranch_execz .LBB0_101
; %bb.99:
	s_add_u32 s7, s55, s56
	s_addc_u32 s8, s50, s57
	v_lshlrev_b32_e32 v3, 2, v0
	v_mov_b32_e32 v2, s8
	s_lshl_b64 s[8:9], s[10:11], 2
	v_add_co_u32_e32 v1, vcc, s7, v3
	s_add_u32 s7, s38, s8
	v_addc_co_u32_e32 v2, vcc, 0, v2, vcc
	s_addc_u32 s8, s39, s9
	v_mov_b32_e32 v4, s8
	v_add_co_u32_e32 v3, vcc, s7, v3
	v_addc_co_u32_e32 v4, vcc, 0, v4, vcc
	s_mov_b64 s[8:9], 0
	v_mov_b32_e32 v5, v0
.LBB0_100:                              ; =>This Inner Loop Header: Depth=1
	global_load_dword v6, v[1:2], off
	v_add_co_u32_e32 v1, vcc, 0x400, v1
	v_add_u32_e32 v5, 0x100, v5
	v_addc_co_u32_e32 v2, vcc, 0, v2, vcc
	v_cmp_le_i32_e32 vcc, s62, v5
	s_or_b64 s[8:9], vcc, s[8:9]
	s_waitcnt vmcnt(0)
	v_mul_f32_e32 v6, v6, v6
	global_store_dword v[3:4], v6, off
	v_add_co_u32_e32 v3, vcc, 0x400, v3
	v_addc_co_u32_e32 v4, vcc, 0, v4, vcc
	s_andn2_b64 exec, exec, s[8:9]
	s_cbranch_execnz .LBB0_100
.LBB0_101:
	s_or_b64 exec, exec, s[2:3]
	s_mul_i32 s2, s45, s6
	s_ashr_i32 s3, s2, 31
	s_lshl_b64 s[2:3], s[2:3], 2
	s_add_u32 s2, s82, s2
	s_addc_u32 s3, s83, s3
	v_cmp_gt_i32_e32 vcc, s45, v0
	s_waitcnt vmcnt(0)
	s_barrier
	s_and_saveexec_b64 s[12:13], vcc
	s_cbranch_execz .LBB0_107
; %bb.102:
	s_cmp_gt_i32 s44, 0
	v_mul_lo_u32 v1, v0, s44
	s_cselect_b64 s[8:9], -1, 0
	s_add_u32 s7, s55, s56
	v_cndmask_b32_e64 v2, 0, 1, s[8:9]
	s_addc_u32 s18, s50, s57
	s_lshl_b32 s19, s44, 8
	s_mov_b64 s[16:17], 0
	v_cmp_ne_u32_e64 s[8:9], 1, v2
	v_mov_b32_e32 v4, 0
	v_mov_b32_e32 v8, s3
	;; [unrolled: 1-line block ×3, first 2 shown]
	s_branch .LBB0_104
.LBB0_103:                              ;   in Loop: Header=BB0_104 Depth=1
	v_lshlrev_b64 v[5:6], 2, v[3:4]
	v_add_u32_e32 v3, 0x100, v3
	v_add_co_u32_e32 v5, vcc, s2, v5
	v_addc_co_u32_e32 v6, vcc, v8, v6, vcc
	v_cmp_le_i32_e32 vcc, s45, v3
	s_or_b64 s[16:17], vcc, s[16:17]
	v_add_u32_e32 v1, s19, v1
	global_store_dword v[5:6], v2, off
	s_andn2_b64 exec, exec, s[16:17]
	s_cbranch_execz .LBB0_107
.LBB0_104:                              ; =>This Loop Header: Depth=1
                                        ;     Child Loop BB0_106 Depth 2
	s_and_b64 vcc, exec, s[8:9]
	v_mov_b32_e32 v2, 0
	s_cbranch_vccnz .LBB0_103
; %bb.105:                              ;   in Loop: Header=BB0_104 Depth=1
	v_mov_b32_e32 v2, v4
	v_lshlrev_b64 v[5:6], 2, v[1:2]
	v_mov_b32_e32 v2, s18
	v_add_co_u32_e32 v5, vcc, s7, v5
	v_addc_co_u32_e32 v6, vcc, v2, v6, vcc
	v_mov_b32_e32 v2, 0
	s_mov_b32 s20, s44
.LBB0_106:                              ;   Parent Loop BB0_104 Depth=1
                                        ; =>  This Inner Loop Header: Depth=2
	global_load_dword v9, v[5:6], off
	s_add_i32 s20, s20, -1
	v_add_co_u32_e32 v5, vcc, 4, v5
	v_addc_co_u32_e32 v6, vcc, 0, v6, vcc
	s_cmp_lg_u32 s20, 0
	s_waitcnt vmcnt(0)
	v_add_f32_e32 v2, v2, v9
	s_cbranch_scc1 .LBB0_106
	s_branch .LBB0_103
.LBB0_107:
	s_or_b64 exec, exec, s[12:13]
	s_mul_i32 s8, s60, s6
	s_ashr_i32 s9, s8, 31
	s_lshl_b64 s[8:9], s[8:9], 2
	s_add_u32 s12, s84, s8
	s_addc_u32 s13, s85, s9
	v_cmp_gt_i32_e32 vcc, s60, v0
	s_waitcnt vmcnt(0)
	s_barrier
	s_and_saveexec_b64 s[16:17], vcc
	s_cbranch_execz .LBB0_113
; %bb.108:
	s_cmp_gt_i32 s61, 0
	s_cselect_b64 s[8:9], -1, 0
	s_lshl_b64 s[10:11], s[10:11], 2
	s_add_u32 s7, s38, s10
	s_addc_u32 s10, s39, s11
	v_lshlrev_b32_e32 v1, 2, v0
	v_mov_b32_e32 v4, s10
	s_ashr_i32 s11, s60, 31
	s_mov_b32 s10, s60
	v_add_co_u32_e32 v3, vcc, s7, v1
	s_lshl_b64 s[18:19], s[10:11], 2
	v_cndmask_b32_e64 v1, 0, 1, s[8:9]
	v_mov_b32_e32 v2, 0
	v_addc_co_u32_e32 v4, vcc, 0, v4, vcc
	s_mov_b64 s[20:21], 0
	v_cmp_ne_u32_e64 s[8:9], 1, v1
	v_mov_b32_e32 v8, s19
	v_mov_b32_e32 v9, s13
	;; [unrolled: 1-line block ×3, first 2 shown]
	s_branch .LBB0_110
.LBB0_109:                              ;   in Loop: Header=BB0_110 Depth=1
	v_lshlrev_b64 v[5:6], 2, v[1:2]
	v_add_u32_e32 v1, 0x100, v1
	v_add_co_u32_e32 v5, vcc, s12, v5
	v_addc_co_u32_e32 v6, vcc, v9, v6, vcc
	v_add_co_u32_e32 v3, vcc, 0x400, v3
	v_cmp_le_i32_e64 s[10:11], s60, v1
	s_or_b64 s[20:21], s[10:11], s[20:21]
	v_addc_co_u32_e32 v4, vcc, 0, v4, vcc
	global_store_dword v[5:6], v10, off
	s_andn2_b64 exec, exec, s[20:21]
	s_cbranch_execz .LBB0_113
.LBB0_110:                              ; =>This Loop Header: Depth=1
                                        ;     Child Loop BB0_112 Depth 2
	s_and_b64 vcc, exec, s[8:9]
	v_mov_b32_e32 v10, 0
	s_cbranch_vccnz .LBB0_109
; %bb.111:                              ;   in Loop: Header=BB0_110 Depth=1
	v_mov_b32_e32 v6, v4
	v_mov_b32_e32 v10, 0
	;; [unrolled: 1-line block ×3, first 2 shown]
	s_mov_b32 s7, s61
.LBB0_112:                              ;   Parent Loop BB0_110 Depth=1
                                        ; =>  This Inner Loop Header: Depth=2
	global_load_dword v11, v[5:6], off
	s_add_i32 s7, s7, -1
	v_add_co_u32_e32 v5, vcc, s18, v5
	v_addc_co_u32_e32 v6, vcc, v6, v8, vcc
	s_cmp_lg_u32 s7, 0
	s_waitcnt vmcnt(0)
	v_add_f32_e32 v10, v10, v11
	s_cbranch_scc1 .LBB0_112
	s_branch .LBB0_109
.LBB0_113:
	s_or_b64 exec, exec, s[16:17]
	s_ashr_i32 s7, s6, 31
	s_lshl_b64 s[18:19], s[6:7], 2
	s_add_u32 s16, s74, s18
	s_addc_u32 s17, s75, s19
	s_add_u32 s10, s76, s18
	s_addc_u32 s11, s77, s19
	v_cmp_eq_u32_e64 s[8:9], 0, v0
	v_cmp_ne_u32_e32 vcc, 0, v0
	s_waitcnt vmcnt(0)
	s_barrier
	s_and_saveexec_b64 s[20:21], vcc
	s_xor_b64 s[20:21], exec, s[20:21]
	s_cbranch_execz .LBB0_120
; %bb.114:
	v_cmp_eq_u32_e32 vcc, 1, v0
	s_and_saveexec_b64 s[22:23], vcc
	s_cbranch_execz .LBB0_119
; %bb.115:
	v_mov_b32_e32 v1, 0
	s_cmp_lt_i32 s61, 1
	global_store_dword v1, v1, s[10:11]
	s_cbranch_scc1 .LBB0_119
; %bb.116:
	v_mov_b32_e32 v2, 0
.LBB0_117:                              ; =>This Inner Loop Header: Depth=1
	global_load_dword v3, v1, s[12:13]
	s_add_i32 s61, s61, -1
	s_add_u32 s12, s12, 4
	s_addc_u32 s13, s13, 0
	s_cmp_eq_u32 s61, 0
	s_waitcnt vmcnt(0)
	v_add_f32_e32 v2, v2, v3
	s_cbranch_scc0 .LBB0_117
; %bb.118:
	v_mov_b32_e32 v1, 0
	global_store_dword v1, v2, s[10:11]
.LBB0_119:
	s_or_b64 exec, exec, s[22:23]
.LBB0_120:
	s_andn2_saveexec_b64 s[12:13], s[20:21]
	s_cbranch_execz .LBB0_125
; %bb.121:
	v_mov_b32_e32 v1, 0
	s_cmp_lt_i32 s45, 1
	global_store_dword v1, v1, s[16:17]
	s_cbranch_scc1 .LBB0_125
; %bb.122:
	s_mov_b32 s7, s45
	v_mov_b32_e32 v2, 0
.LBB0_123:                              ; =>This Inner Loop Header: Depth=1
	global_load_dword v3, v1, s[2:3]
	s_add_i32 s7, s7, -1
	s_add_u32 s2, s2, 4
	s_addc_u32 s3, s3, 0
	s_cmp_eq_u32 s7, 0
	s_waitcnt vmcnt(0)
	v_add_f32_e32 v2, v2, v3
	s_cbranch_scc0 .LBB0_123
; %bb.124:
	v_mov_b32_e32 v1, 0
	global_store_dword v1, v2, s[16:17]
.LBB0_125:
	s_or_b64 exec, exec, s[12:13]
	s_add_u32 s2, s78, s18
	s_addc_u32 s3, s79, s19
	s_waitcnt vmcnt(0)
	s_barrier
	s_and_saveexec_b64 s[18:19], s[8:9]
	s_cbranch_execz .LBB0_127
; %bb.126:
	v_mov_b32_e32 v1, 0
	global_load_dword v2, v1, s[16:17]
	global_load_dword v3, v1, s[10:11]
	s_add_i32 s7, s46, -1
	v_cvt_f32_i32_e32 v11, s7
	s_mov_b32 s7, 0xf800000
	s_waitcnt vmcnt(1)
	v_div_scale_f32 v4, s[10:11], v7, v7, v2
	s_waitcnt vmcnt(0)
	v_div_scale_f32 v5, s[10:11], v7, v7, v3
	v_div_scale_f32 v6, vcc, v2, v7, v2
	v_div_scale_f32 v8, s[10:11], v3, v7, v3
	v_rcp_f32_e32 v9, v4
	v_rcp_f32_e32 v10, v5
	v_fma_f32 v12, -v4, v9, 1.0
	v_fmac_f32_e32 v9, v12, v9
	v_fma_f32 v13, -v5, v10, 1.0
	v_fmac_f32_e32 v10, v13, v10
	v_mul_f32_e32 v12, v6, v9
	v_mul_f32_e32 v13, v8, v10
	v_fma_f32 v14, -v4, v12, v6
	v_fma_f32 v15, -v5, v13, v8
	v_fmac_f32_e32 v12, v14, v9
	v_fmac_f32_e32 v13, v15, v10
	v_fma_f32 v4, -v4, v12, v6
	v_fma_f32 v5, -v5, v13, v8
	v_div_fmas_f32 v4, v4, v9, v12
	s_mov_b64 vcc, s[10:11]
	v_div_fmas_f32 v5, v5, v10, v13
	v_mul_f32_e32 v6, 0x4f800000, v11
	v_cmp_gt_f32_e32 vcc, s7, v11
	v_cndmask_b32_e32 v6, v11, v6, vcc
	v_sqrt_f32_e32 v8, v6
	v_mov_b32_e32 v9, 0x260
	v_add_u32_e32 v10, -1, v8
	v_fma_f32 v12, -v10, v8, v6
	v_add_u32_e32 v11, 1, v8
	v_cmp_ge_f32_e64 s[10:11], 0, v12
	v_fma_f32 v13, -v11, v8, v6
	v_cndmask_b32_e64 v8, v8, v10, s[10:11]
	v_div_fixup_f32 v2, v4, v7, v2
	v_cmp_lt_f32_e64 s[12:13], 0, v13
	v_div_fixup_f32 v3, v5, v7, v3
	v_fma_f32 v2, -v2, v2, v3
	v_mul_f32_e32 v3, 0x4f800000, v2
	v_cmp_gt_f32_e64 s[10:11], s7, v2
	v_cndmask_b32_e64 v2, v2, v3, s[10:11]
	v_sqrt_f32_e32 v3, v2
	v_cndmask_b32_e64 v4, v8, v11, s[12:13]
	v_mul_f32_e32 v5, 0x37800000, v4
	v_cndmask_b32_e32 v4, v4, v5, vcc
	v_add_u32_e32 v5, -1, v3
	v_add_u32_e32 v8, 1, v3
	v_fma_f32 v10, -v5, v3, v2
	v_fma_f32 v11, -v8, v3, v2
	v_cmp_ge_f32_e32 vcc, 0, v10
	v_cndmask_b32_e32 v3, v3, v5, vcc
	v_cmp_lt_f32_e32 vcc, 0, v11
	v_cndmask_b32_e32 v3, v3, v8, vcc
	v_mul_f32_e32 v5, 0x37800000, v3
	v_cndmask_b32_e64 v3, v3, v5, s[10:11]
	v_cmp_class_f32_e32 vcc, v2, v9
	v_cndmask_b32_e32 v2, v3, v2, vcc
	v_cmp_class_f32_e32 vcc, v6, v9
	v_cndmask_b32_e32 v3, v4, v6, vcc
	v_mul_f32_e32 v2, v3, v2
	global_store_dword v1, v2, s[2:3]
.LBB0_127:
	s_or_b64 exec, exec, s[18:19]
	s_waitcnt vmcnt(0)
	s_barrier
	s_and_saveexec_b64 s[10:11], s[4:5]
	s_cbranch_execz .LBB0_130
; %bb.128:
	v_mov_b32_e32 v1, 0
	global_load_dword v3, v1, s[2:3]
	s_lshl_b64 s[2:3], s[14:15], 2
	s_add_u32 s2, s36, s2
	v_lshlrev_b32_e32 v1, 2, v0
	s_addc_u32 s3, s37, s3
	v_mov_b32_e32 v2, s3
	v_add_co_u32_e32 v1, vcc, s2, v1
	v_addc_co_u32_e32 v2, vcc, 0, v2, vcc
	s_mov_b64 s[2:3], 0
	v_mov_b32_e32 v4, v0
.LBB0_129:                              ; =>This Inner Loop Header: Depth=1
	global_load_dword v5, v[1:2], off
	v_add_u32_e32 v4, 0x100, v4
	v_cmp_le_i32_e32 vcc, s31, v4
	s_or_b64 s[2:3], vcc, s[2:3]
	s_waitcnt vmcnt(0)
	v_mul_f32_e32 v5, v5, v3
	global_store_dword v[1:2], v5, off
	v_add_co_u32_e32 v1, vcc, 0x400, v1
	v_addc_co_u32_e32 v2, vcc, 0, v2, vcc
	s_andn2_b64 exec, exec, s[2:3]
	s_cbranch_execnz .LBB0_129
.LBB0_130:
	s_or_b64 exec, exec, s[10:11]
	s_waitcnt vmcnt(0)
	s_barrier
	s_mov_b64 s[2:3], exec
	v_readlane_b32 s10, v23, 61
	v_readlane_b32 s11, v23, 62
	s_and_b64 s[10:11], s[2:3], s[10:11]
	s_mov_b64 exec, s[10:11]
	s_cbranch_execz .LBB0_133
; %bb.131:
	v_mov_b32_e32 v1, 0
	global_load_dword v5, v1, s[16:17]
	v_readlane_b32 s10, v23, 59
	v_readlane_b32 s11, v23, 60
	s_lshl_b64 s[10:11], s[10:11], 2
	s_add_u32 s7, s70, s10
	s_addc_u32 s10, s71, s11
	v_lshlrev_b32_e32 v3, 2, v0
	v_mov_b32_e32 v2, s10
	s_lshl_b64 s[10:11], s[42:43], 2
	v_add_co_u32_e32 v1, vcc, s7, v3
	s_add_u32 s7, s80, s10
	v_addc_co_u32_e32 v2, vcc, 0, v2, vcc
	s_addc_u32 s10, s81, s11
	v_mov_b32_e32 v4, s10
	v_add_co_u32_e32 v3, vcc, s7, v3
	v_addc_co_u32_e32 v4, vcc, 0, v4, vcc
	s_mov_b64 s[10:11], 0
	v_mov_b32_e32 v6, v0
.LBB0_132:                              ; =>This Inner Loop Header: Depth=1
	global_load_dword v8, v[3:4], off
	global_load_dword v9, v[1:2], off
	v_add_u32_e32 v6, 0x100, v6
	s_waitcnt vmcnt(1)
	v_mul_f32_e32 v8, v8, v5
	v_div_scale_f32 v10, s[12:13], v7, v7, v8
	v_div_scale_f32 v11, vcc, v8, v7, v8
	v_rcp_f32_e32 v12, v10
	v_fma_f32 v13, -v10, v12, 1.0
	v_fmac_f32_e32 v12, v13, v12
	v_mul_f32_e32 v13, v11, v12
	v_fma_f32 v14, -v10, v13, v11
	v_fmac_f32_e32 v13, v14, v12
	v_fma_f32 v10, -v10, v13, v11
	v_div_fmas_f32 v10, v10, v12, v13
	v_cmp_le_i32_e32 vcc, s51, v6
	s_or_b64 s[10:11], vcc, s[10:11]
	v_div_fixup_f32 v8, v10, v7, v8
	s_waitcnt vmcnt(0)
	v_sub_f32_e32 v8, v9, v8
	global_store_dword v[1:2], v8, off
	v_add_co_u32_e32 v1, vcc, 0x400, v1
	v_addc_co_u32_e32 v2, vcc, 0, v2, vcc
	v_add_co_u32_e32 v3, vcc, 0x400, v3
	v_addc_co_u32_e32 v4, vcc, 0, v4, vcc
	s_andn2_b64 exec, exec, s[10:11]
	s_cbranch_execnz .LBB0_132
.LBB0_133:
	s_or_b64 exec, exec, s[2:3]
	s_waitcnt vmcnt(0)
	s_barrier
	s_and_saveexec_b64 s[2:3], s[4:5]
	v_readlane_b32 s48, v23, 19
	v_readlane_b32 s49, v23, 20
	s_cbranch_execz .LBB0_136
; %bb.134:
	v_readlane_b32 s4, v23, 59
	v_readlane_b32 s5, v23, 60
	s_lshl_b64 s[4:5], s[4:5], 2
	s_add_u32 s4, s70, s4
	v_lshlrev_b32_e32 v3, 2, v0
	s_addc_u32 s5, s71, s5
	v_mov_b32_e32 v2, s5
	v_add_co_u32_e32 v1, vcc, s4, v3
	s_lshl_b64 s[4:5], s[14:15], 2
	s_add_u32 s4, s36, s4
	v_addc_co_u32_e32 v2, vcc, 0, v2, vcc
	s_addc_u32 s5, s37, s5
	v_mov_b32_e32 v4, s5
	v_add_co_u32_e32 v3, vcc, s4, v3
	v_addc_co_u32_e32 v4, vcc, 0, v4, vcc
	s_mov_b64 s[4:5], 0
	v_mov_b32_e32 v5, v0
.LBB0_135:                              ; =>This Inner Loop Header: Depth=1
	global_load_dword v6, v[1:2], off
	global_load_dword v7, v[3:4], off
	v_add_u32_e32 v5, 0x100, v5
	s_waitcnt vmcnt(0)
	v_div_scale_f32 v8, s[10:11], v7, v7, v6
	v_div_scale_f32 v9, vcc, v6, v7, v6
	v_rcp_f32_e32 v10, v8
	v_fma_f32 v11, -v8, v10, 1.0
	v_fmac_f32_e32 v10, v11, v10
	v_mul_f32_e32 v11, v9, v10
	v_fma_f32 v12, -v8, v11, v9
	v_fmac_f32_e32 v11, v12, v10
	v_fma_f32 v8, -v8, v11, v9
	v_div_fmas_f32 v8, v8, v10, v11
	v_cmp_le_i32_e32 vcc, s31, v5
	s_or_b64 s[4:5], vcc, s[4:5]
	v_add_co_u32_e32 v1, vcc, 0x400, v1
	v_addc_co_u32_e32 v2, vcc, 0, v2, vcc
	v_div_fixup_f32 v6, v8, v7, v6
	global_store_dword v[3:4], v6, off
	v_add_co_u32_e32 v3, vcc, 0x400, v3
	v_addc_co_u32_e32 v4, vcc, 0, v4, vcc
	s_andn2_b64 exec, exec, s[4:5]
	s_cbranch_execnz .LBB0_135
.LBB0_136:
	s_or_b64 exec, exec, s[2:3]
	s_mul_i32 s2, s66, s6
	s_mul_i32 s4, s48, s93
	s_ashr_i32 s3, s2, 31
	s_add_i32 s4, s4, s58
	v_cmp_gt_i32_e32 vcc, s66, v0
	s_waitcnt vmcnt(0)
	s_barrier
	s_and_saveexec_b64 s[10:11], vcc
	s_cbranch_execz .LBB0_143
; %bb.137:
	s_lshl_b64 s[12:13], s[2:3], 2
	s_add_u32 s7, s40, s12
	s_addc_u32 s18, s41, s13
	s_ashr_i32 s5, s4, 31
	s_lshl_b64 s[12:13], s[4:5], 2
	s_add_u32 s5, s52, s12
	s_addc_u32 s17, s47, s13
	s_add_u32 s16, s5, -4
	s_addc_u32 s17, s17, -1
	s_load_dword s5, s[16:17], 0x0
	v_readlane_b32 s16, v23, 26
	v_readlane_b32 s17, v23, 27
	s_load_dword s16, s[16:17], 0x0
	v_readlane_b32 s20, v23, 17
	v_readlane_b32 s21, v23, 18
	s_add_i32 s17, s20, s21
	s_add_i32 s19, s17, 1
	s_waitcnt lgkmcnt(0)
	s_add_i32 s5, s5, s19
	s_not_b32 s16, s16
	s_add_i32 s5, s5, s16
	s_add_u32 s12, s54, s12
	s_addc_u32 s13, s53, s13
	v_readlane_b32 s20, v23, 22
	s_add_u32 s12, s12, -4
	v_readlane_b32 s21, v23, 23
	s_addc_u32 s13, s13, -1
	s_load_dword s16, s[20:21], 0x0
	s_nop 0
	s_load_dword s20, s[12:13], 0x0
	s_mul_i32 s5, s5, s64
	v_lshlrev_b32_e32 v1, 2, v0
	v_add_co_u32_e32 v1, vcc, s7, v1
	s_waitcnt lgkmcnt(0)
	s_not_b32 s12, s16
	s_add_i32 s13, s20, s19
	s_add_i32 s12, s13, s12
	;; [unrolled: 1-line block ×3, first 2 shown]
	s_mov_b32 s13, 0
	s_lshl_b64 s[12:13], s[12:13], 2
	s_add_u32 s12, s7, s12
	s_addc_u32 s13, s18, s13
	s_add_i32 s7, s17, s20
	s_add_i32 s7, s7, s5
	v_mov_b32_e32 v2, s18
	v_sub_u32_e32 v4, s7, v0
	v_mov_b32_e32 v3, 0
	v_addc_co_u32_e32 v2, vcc, 0, v2, vcc
	v_subrev_u32_e32 v4, s16, v4
	s_mov_b64 s[16:17], 0
	v_mov_b32_e32 v5, 1.0
	v_mov_b32_e32 v6, v0
	s_branch .LBB0_139
.LBB0_138:                              ;   in Loop: Header=BB0_139 Depth=1
	s_or_b64 exec, exec, s[18:19]
	v_add_co_u32_e32 v1, vcc, 0x400, v1
	v_add_u32_e32 v6, 0x100, v6
	v_addc_co_u32_e32 v2, vcc, 0, v2, vcc
	v_cmp_le_i32_e32 vcc, s66, v6
	s_or_b64 s[16:17], vcc, s[16:17]
	v_add_u32_e32 v4, 0xffffff00, v4
	s_andn2_b64 exec, exec, s[16:17]
	s_cbranch_execz .LBB0_143
.LBB0_139:                              ; =>This Inner Loop Header: Depth=1
	v_cmp_ne_u32_e32 vcc, 0, v4
	s_and_saveexec_b64 s[18:19], vcc
	s_xor_b64 s[18:19], exec, s[18:19]
	s_cbranch_execz .LBB0_141
; %bb.140:                              ;   in Loop: Header=BB0_139 Depth=1
	global_store_dword v[1:2], v3, off
.LBB0_141:                              ;   in Loop: Header=BB0_139 Depth=1
	s_andn2_saveexec_b64 s[18:19], s[18:19]
	s_cbranch_execz .LBB0_138
; %bb.142:                              ;   in Loop: Header=BB0_139 Depth=1
	global_store_dword v3, v5, s[12:13]
	s_branch .LBB0_138
.LBB0_143:
	s_or_b64 exec, exec, s[10:11]
	s_mul_i32 s10, s30, s6
	s_ashr_i32 s11, s10, 31
	v_cmp_gt_i32_e32 vcc, s30, v0
	s_waitcnt vmcnt(0)
	s_barrier
	s_and_saveexec_b64 s[12:13], vcc
	v_readlane_b32 s40, v23, 28
	v_readlane_b32 s41, v23, 29
	s_cbranch_execz .LBB0_154
; %bb.144:
	s_lshl_b64 s[14:15], s[14:15], 2
	v_readlane_b32 s16, v23, 41
	v_readlane_b32 s17, v23, 42
	s_add_u32 s5, s16, s14
	v_readlane_b32 s22, v23, 47
	s_addc_u32 s7, s17, s15
	s_lshl_b64 s[14:15], s[10:11], 2
	v_readlane_b32 s23, v23, 48
	s_add_u32 s26, s22, s14
	s_addc_u32 s27, s23, s15
	s_abs_i32 s31, s28
	v_cvt_f32_u32_e32 v1, s31
	s_sub_i32 s16, 0, s31
	v_readlane_b32 s20, v23, 45
	s_ashr_i32 s34, s28, 31
	v_rcp_iflag_f32_e32 v1, v1
	s_sub_i32 s35, 0, s0
	s_lshl_b64 s[2:3], s[2:3], 2
	v_readlane_b32 s21, v23, 46
	v_mul_f32_e32 v1, 0x4f7ffffe, v1
	v_cvt_u32_f32_e32 v1, v1
	s_add_u32 s2, s20, s2
	s_addc_u32 s3, s21, s3
	s_add_u32 s36, s2, -4
	v_mul_lo_u32 v3, s16, v1
	v_mov_b32_e32 v2, 0
	s_mov_b64 s[14:15], 0
	v_mov_b32_e32 v6, s41
	v_mul_hi_u32 v3, v1, v3
	s_addc_u32 s37, s3, -1
	s_sub_i32 s38, 1, s0
	s_sub_i32 s39, 0, s1
	v_add_u32_e32 v7, v1, v3
	v_mov_b32_e32 v8, s28
	v_mov_b32_e32 v1, v0
	v_readlane_b32 s18, v23, 43
	v_readlane_b32 s19, v23, 44
	s_branch .LBB0_147
.LBB0_145:                              ;   in Loop: Header=BB0_147 Depth=1
	s_or_b64 exec, exec, s[18:19]
.LBB0_146:                              ;   in Loop: Header=BB0_147 Depth=1
	s_or_b64 exec, exec, s[16:17]
	v_lshlrev_b64 v[3:4], 2, v[1:2]
	v_mov_b32_e32 v5, s7
	v_add_co_u32_e32 v10, vcc, s5, v3
	v_addc_co_u32_e32 v11, vcc, v5, v4, vcc
	global_load_dword v5, v[10:11], off
	v_add_u32_e32 v1, 0x100, v1
	v_mov_b32_e32 v10, s27
	v_cmp_le_i32_e32 vcc, s30, v1
	v_add_co_u32_e64 v3, s[2:3], s26, v3
	v_addc_co_u32_e64 v4, s[2:3], v10, v4, s[2:3]
	s_or_b64 s[14:15], vcc, s[14:15]
	s_waitcnt vmcnt(0)
	v_mul_f32_e32 v5, v9, v5
	global_store_dword v[3:4], v5, off
	s_andn2_b64 exec, exec, s[14:15]
	s_cbranch_execz .LBB0_154
.LBB0_147:                              ; =>This Loop Header: Depth=1
                                        ;     Child Loop BB0_150 Depth 2
                                        ;       Child Loop BB0_152 Depth 3
	v_add_u32_e32 v3, 1, v1
	v_not_b32_e32 v4, v1
	v_max_i32_e32 v4, v3, v4
	v_mul_hi_u32 v5, v4, v7
	v_ashrrev_i32_e32 v10, 31, v3
	v_xor_b32_e32 v10, s34, v10
	v_mul_lo_u32 v9, v5, s31
	v_add_u32_e32 v11, 1, v5
	v_sub_u32_e32 v4, v4, v9
	v_cmp_le_u32_e32 vcc, s31, v4
	v_subrev_u32_e32 v9, s31, v4
	v_cndmask_b32_e32 v5, v5, v11, vcc
	v_cndmask_b32_e32 v4, v4, v9, vcc
	v_add_u32_e32 v9, 1, v5
	v_cmp_le_u32_e32 vcc, s31, v4
	v_cndmask_b32_e32 v4, v5, v9, vcc
	v_xor_b32_e32 v4, v4, v10
	v_sub_u32_e32 v5, v4, v10
	v_mul_lo_u32 v4, v5, s28
	v_mov_b32_e32 v9, 0
	v_sub_u32_e32 v4, v3, v4
	v_cmp_ne_u32_e32 vcc, 0, v4
	v_addc_co_u32_e64 v3, s[2:3], v5, v6, vcc
	v_subrev_u32_e32 v5, s1, v3
	v_add_u32_e32 v5, 1, v5
	v_cmp_le_i32_e64 s[2:3], s1, v3
	v_cndmask_b32_e64 v11, 1, v5, s[2:3]
	v_min_i32_e32 v10, s65, v3
	v_cmp_le_i32_e64 s[2:3], v11, v10
	s_and_saveexec_b64 s[16:17], s[2:3]
	s_cbranch_execz .LBB0_146
; %bb.148:                              ;   in Loop: Header=BB0_147 Depth=1
	v_max_i32_e32 v3, s1, v3
	v_cndmask_b32_e32 v4, v8, v4, vcc
	v_add_u32_e32 v3, s39, v3
	v_add_u32_e32 v4, s40, v4
	v_mul_lo_u32 v3, s64, v3
	v_subrev_u32_e32 v5, s0, v4
	v_add_u32_e32 v5, 1, v5
	v_cmp_le_i32_e32 vcc, s0, v4
	v_cndmask_b32_e32 v5, 1, v5, vcc
	v_min_i32_e32 v12, s64, v4
	v_max_i32_e32 v4, s0, v4
	v_cmp_le_i32_e32 vcc, v5, v12
	v_add_u32_e32 v13, s35, v4
	v_add3_u32 v3, s38, v4, v3
	v_mov_b32_e32 v9, 0
	s_mov_b64 s[18:19], 0
	s_branch .LBB0_150
.LBB0_149:                              ;   in Loop: Header=BB0_150 Depth=2
	s_or_b64 exec, exec, s[20:21]
	v_add_u32_e32 v4, 1, v11
	v_cmp_ge_i32_e64 s[2:3], v11, v10
	v_add_u32_e32 v3, s64, v3
	s_or_b64 s[18:19], s[2:3], s[18:19]
	v_mov_b32_e32 v11, v4
	s_andn2_b64 exec, exec, s[18:19]
	s_cbranch_execz .LBB0_145
.LBB0_150:                              ;   Parent Loop BB0_147 Depth=1
                                        ; =>  This Loop Header: Depth=2
                                        ;       Child Loop BB0_152 Depth 3
	s_and_saveexec_b64 s[20:21], vcc
	s_cbranch_execz .LBB0_149
; %bb.151:                              ;   in Loop: Header=BB0_150 Depth=2
	v_ashrrev_i32_e32 v4, 31, v3
	v_lshlrev_b64 v[4:5], 2, v[3:4]
	v_mov_b32_e32 v14, s37
	v_add_co_u32_e64 v4, s[2:3], s36, v4
	v_addc_co_u32_e64 v5, s[2:3], v14, v5, s[2:3]
	s_mov_b64 s[22:23], 0
	v_mov_b32_e32 v14, v13
.LBB0_152:                              ;   Parent Loop BB0_147 Depth=1
                                        ;     Parent Loop BB0_150 Depth=2
                                        ; =>    This Inner Loop Header: Depth=3
	global_load_dword v15, v[4:5], off
	v_add_co_u32_e64 v4, s[2:3], 4, v4
	v_add_u32_e32 v14, 1, v14
	v_addc_co_u32_e64 v5, s[2:3], 0, v5, s[2:3]
	v_cmp_ge_i32_e64 s[2:3], v14, v12
	s_or_b64 s[22:23], s[2:3], s[22:23]
	s_waitcnt vmcnt(0)
	v_add_f32_e32 v9, v9, v15
	s_andn2_b64 exec, exec, s[22:23]
	s_cbranch_execnz .LBB0_152
; %bb.153:                              ;   in Loop: Header=BB0_150 Depth=2
	s_or_b64 exec, exec, s[22:23]
	s_branch .LBB0_149
.LBB0_154:
	s_or_b64 exec, exec, s[12:13]
	s_mul_i32 s0, s28, s6
	s_ashr_i32 s1, s0, 31
	s_lshl_b64 s[2:3], s[0:1], 2
	s_add_u32 s0, s86, s2
	s_addc_u32 s1, s87, s3
	s_add_u32 s6, s72, s2
	s_addc_u32 s7, s73, s3
	v_cmp_gt_i32_e32 vcc, s28, v0
	s_waitcnt vmcnt(0)
	s_barrier
	s_and_saveexec_b64 s[12:13], vcc
	v_readlane_b32 s36, v23, 41
	v_readlane_b32 s22, v23, 58
	;; [unrolled: 1-line block ×13, first 2 shown]
	s_cbranch_execz .LBB0_160
; %bb.155:
	s_cmp_gt_i32 s29, 0
	v_mul_lo_u32 v1, v0, s28
	s_mov_b64 s[14:15], s[42:43]
	s_cselect_b64 s[2:3], -1, 0
	s_lshl_b32 s5, s28, 8
	s_lshl_b64 s[10:11], s[10:11], 2
	s_add_u32 s14, s14, s10
	v_mov_b32_e32 v4, 0
	v_cndmask_b32_e64 v2, 0, 1, s[2:3]
	s_addc_u32 s15, s15, s11
	v_mov_b32_e32 v7, 0
	s_mov_b64 s[10:11], 0
	v_cmp_ne_u32_e64 s[2:3], 1, v2
	v_mov_b32_e32 v8, s7
	v_mov_b32_e32 v9, s1
	;; [unrolled: 1-line block ×4, first 2 shown]
	s_branch .LBB0_157
.LBB0_156:                              ;   in Loop: Header=BB0_157 Depth=1
	v_lshlrev_b64 v[5:6], 2, v[3:4]
	v_cvt_f32_i32_e32 v2, v7
	v_add_co_u32_e32 v11, vcc, s6, v5
	v_addc_co_u32_e32 v12, vcc, v8, v6, vcc
	v_add_co_u32_e32 v5, vcc, s0, v5
	v_addc_co_u32_e32 v6, vcc, v9, v6, vcc
	v_add_u32_e32 v3, 0x100, v3
	v_cmp_le_i32_e32 vcc, s28, v3
	s_or_b64 s[10:11], vcc, s[10:11]
	v_add_u32_e32 v1, s5, v1
	global_store_dword v[11:12], v2, off
	global_store_dword v[5:6], v10, off
	s_andn2_b64 exec, exec, s[10:11]
	s_cbranch_execz .LBB0_160
.LBB0_157:                              ; =>This Loop Header: Depth=1
                                        ;     Child Loop BB0_159 Depth 2
	s_and_b64 vcc, exec, s[2:3]
	s_cbranch_vccnz .LBB0_156
; %bb.158:                              ;   in Loop: Header=BB0_157 Depth=1
	v_ashrrev_i32_e32 v2, 31, v1
	v_lshlrev_b64 v[5:6], 2, v[1:2]
	v_mov_b32_e32 v2, s15
	v_add_co_u32_e32 v5, vcc, s14, v5
	v_addc_co_u32_e32 v6, vcc, v2, v6, vcc
	v_mov_b32_e32 v2, v1
	s_mov_b32 s16, s29
.LBB0_159:                              ;   Parent Loop BB0_157 Depth=1
                                        ; =>  This Inner Loop Header: Depth=2
	global_load_dword v11, v[5:6], off
	v_add_co_u32_e32 v5, vcc, 4, v5
	v_addc_co_u32_e32 v6, vcc, 0, v6, vcc
	s_add_i32 s16, s16, -1
	s_cmp_lg_u32 s16, 0
	s_waitcnt vmcnt(0)
	v_cmp_gt_f32_e64 vcc, |v11|, v10
	v_cndmask_b32_e32 v7, v7, v2, vcc
	v_add_u32_e32 v2, 1, v2
	v_cndmask_b32_e64 v10, v10, |v11|, vcc
	s_cbranch_scc1 .LBB0_159
	s_branch .LBB0_156
.LBB0_160:
	s_or_b64 exec, exec, s[12:13]
	s_waitcnt vmcnt(0)
	s_barrier
	s_and_saveexec_b64 s[2:3], s[8:9]
	s_cbranch_execz .LBB0_169
; %bb.161:
	s_cmp_lt_i32 s28, 1
	s_mov_b32 s5, 1
	s_cbranch_scc1 .LBB0_168
; %bb.162:
	s_mov_b32 s5, 0
	v_mov_b32_e32 v1, 0
	s_mov_b32 s8, s28
	v_mov_b32_e32 v2, 0
	s_branch .LBB0_164
.LBB0_163:                              ;   in Loop: Header=BB0_164 Depth=1
	s_add_i32 s8, s8, -1
	s_add_u32 s0, s0, 4
	s_addc_u32 s1, s1, 0
	s_add_u32 s6, s6, 4
	s_addc_u32 s7, s7, 0
	s_cmp_lg_u32 s8, 0
	s_cbranch_scc0 .LBB0_167
.LBB0_164:                              ; =>This Inner Loop Header: Depth=1
	global_load_dword v3, v1, s[0:1]
	s_waitcnt vmcnt(0)
	v_cmp_ngt_f32_e32 vcc, v3, v2
	s_cbranch_vccnz .LBB0_163
; %bb.165:                              ;   in Loop: Header=BB0_164 Depth=1
	global_load_dword v2, v1, s[6:7]
	s_waitcnt vmcnt(0)
	v_cvt_i32_f32_e32 v2, v2
	v_readfirstlane_b32 s5, v2
	v_mov_b32_e32 v2, v3
	s_branch .LBB0_163
.LBB0_166:
	s_mov_b64 s[2:3], 0
	s_cbranch_execz .LBB0_171
	s_branch .LBB0_177
.LBB0_167:
	s_add_i32 s5, s5, 1
.LBB0_168:
	s_abs_i32 s0, s28
	v_cvt_f32_u32_e32 v1, s0
	v_readlane_b32 s8, v23, 22
	v_readlane_b32 s9, v23, 23
	s_load_dword s8, s[8:9], 0x0
	v_rcp_iflag_f32_e32 v1, v1
	s_sub_i32 s7, 0, s0
	s_abs_i32 s6, s5
	s_xor_b32 s1, s5, s28
	v_mul_f32_e32 v1, 0x4f7ffffe, v1
	v_cvt_u32_f32_e32 v1, v1
	s_ashr_i32 s1, s1, 31
	v_readlane_b32 s12, v23, 17
	v_readlane_b32 s13, v23, 18
	v_readfirstlane_b32 s9, v1
	s_mul_i32 s7, s7, s9
	s_mul_hi_u32 s7, s9, s7
	s_add_i32 s9, s9, s7
	s_mul_hi_u32 s7, s6, s9
	s_mul_i32 s9, s7, s0
	s_sub_i32 s6, s6, s9
	s_add_i32 s10, s7, 1
	s_sub_i32 s9, s6, s0
	s_cmp_ge_u32 s6, s0
	s_cselect_b32 s7, s10, s7
	s_cselect_b32 s6, s9, s6
	s_add_i32 s9, s7, 1
	s_cmp_ge_u32 s6, s0
	s_cselect_b32 s0, s9, s7
	s_xor_b32 s0, s0, s1
	s_sub_i32 s10, s0, s1
	s_mul_i32 s0, s10, s28
	s_sub_i32 s5, s5, s0
	s_cmp_eq_u32 s5, 0
	s_cselect_b64 s[0:1], -1, 0
	s_and_b64 s[6:7], s[0:1], exec
	s_cselect_b32 s6, s28, s5
	s_sub_i32 s11, s13, s12
	s_sub_i32 s7, s11, s44
	s_ashr_i32 s5, s4, 31
	s_add_i32 s6, s7, s6
	s_waitcnt lgkmcnt(0)
	s_add_i32 s12, s6, s8
	s_lshl_b64 s[6:7], s[4:5], 2
	s_add_u32 s8, s54, s6
	s_addc_u32 s9, s53, s7
	v_mov_b32_e32 v1, 0
	v_mov_b32_e32 v2, s12
	global_store_dword v1, v2, s[8:9]
	v_readlane_b32 s8, v23, 26
	v_readlane_b32 s9, v23, 27
	s_load_dword s5, s[8:9], 0x0
	s_sub_i32 s8, s11, s45
	s_add_i32 s8, s8, s10
	s_add_i32 s8, s8, 1
	s_cmp_lg_u64 s[0:1], 0
	s_subb_u32 s0, s8, 0
	s_waitcnt lgkmcnt(0)
	s_add_i32 s5, s0, s5
	s_add_u32 s0, s52, s6
	s_addc_u32 s1, s47, s7
	v_mov_b32_e32 v2, s5
	global_store_dword v1, v2, s[0:1]
.LBB0_169:
	s_or_b64 exec, exec, s[2:3]
	s_mul_i32 s0, s58, 0xcccccccd
	s_add_i32 s0, s0, 0x19999998
	s_mov_b32 s2, 0x19999998
	v_alignbit_b32 v1, s0, s0, 1
	v_cmp_lt_u32_e32 vcc, s2, v1
	s_mov_b64 s[0:1], 0
	s_mov_b64 s[2:3], 0
	s_waitcnt vmcnt(0)
	s_barrier
	s_cbranch_vccz .LBB0_173
; %bb.170:
	s_and_b64 vcc, exec, s[0:1]
	s_cbranch_vccnz .LBB0_177
.LBB0_171:
	s_and_b64 vcc, exec, s[2:3]
	s_cbranch_vccnz .LBB0_183
.LBB0_172:
	s_endpgm
.LBB0_173:
	s_ashr_i32 s5, s4, 31
	s_lshl_b64 s[2:3], s[4:5], 2
	s_add_u32 s4, s54, s2
	s_addc_u32 s5, s53, s3
	v_mov_b32_e32 v3, 0
	s_add_u32 s2, s52, s2
	s_addc_u32 s3, s47, s3
	global_load_dword v1, v3, s[4:5]
	global_load_dword v2, v3, s[2:3]
	v_readlane_b32 s2, v23, 22
	v_readlane_b32 s3, v23, 23
	s_waitcnt vmcnt(1)
	s_nop 3
	global_store_dword v3, v1, s[2:3]
	v_readlane_b32 s2, v23, 26
	v_readlane_b32 s3, v23, 27
	s_waitcnt vmcnt(1)
	s_nop 3
	global_store_dword v3, v2, s[2:3]
	s_mov_b64 s[2:3], exec
	v_readlane_b32 s4, v23, 39
	v_readlane_b32 s5, v23, 40
	s_and_b64 s[4:5], s[2:3], s[4:5]
	s_mov_b64 exec, s[4:5]
	s_cbranch_execz .LBB0_176
; %bb.174:
	s_abs_i32 s6, s44
	v_cvt_f32_u32_e32 v5, s6
	v_subrev_u32_e32 v4, 27, v1
	s_sub_i32 s8, 0, s6
	s_ashr_i32 s7, s44, 31
	v_rcp_iflag_f32_e32 v1, v5
	v_subrev_u32_e32 v3, 26, v2
	v_lshlrev_b32_e32 v2, 2, v0
	v_sub_f32_e64 v5, 1.0, s92
	v_mul_f32_e32 v1, 0x4f7ffffe, v1
	v_cvt_u32_f32_e32 v7, v1
	s_mov_b64 s[4:5], 0
	v_mov_b32_e32 v6, s44
	v_mul_lo_u32 v1, s8, v7
	s_add_u32 s8, s55, s56
	s_addc_u32 s9, s50, s57
	v_mov_b32_e32 v8, s9
	v_mul_hi_u32 v9, v7, v1
	v_add_co_u32_e32 v1, vcc, s8, v2
	v_addc_co_u32_e32 v2, vcc, 0, v8, vcc
	v_add_u32_e32 v7, v7, v9
	v_mov_b32_e32 v8, s25
	v_mov_b32_e32 v9, v0
.LBB0_175:                              ; =>This Inner Loop Header: Depth=1
	v_add_u32_e32 v10, 1, v9
	v_not_b32_e32 v11, v9
	v_max_i32_e32 v11, v10, v11
	v_mul_hi_u32 v13, v11, v7
	v_ashrrev_i32_e32 v12, 31, v10
	v_xor_b32_e32 v12, s7, v12
	v_add_u32_e32 v9, 0x100, v9
	v_mul_lo_u32 v14, v13, s6
	v_add_u32_e32 v15, 1, v13
	v_sub_u32_e32 v11, v11, v14
	v_cmp_le_u32_e32 vcc, s6, v11
	v_subrev_u32_e32 v14, s6, v11
	v_cndmask_b32_e32 v13, v13, v15, vcc
	v_cndmask_b32_e32 v11, v11, v14, vcc
	v_add_u32_e32 v14, 1, v13
	v_cmp_le_u32_e32 vcc, s6, v11
	v_cndmask_b32_e32 v11, v13, v14, vcc
	v_xor_b32_e32 v11, v11, v12
	v_sub_u32_e32 v11, v11, v12
	v_mul_lo_u32 v12, v11, s44
	v_add_u32_e32 v11, v3, v11
	v_sub_u32_e32 v10, v10, v12
	v_cmp_eq_u32_e32 vcc, 0, v10
	v_cndmask_b32_e32 v10, v10, v6, vcc
	v_subbrev_co_u32_e32 v11, vcc, 0, v11, vcc
	v_mul_lo_u32 v11, v11, s94
	v_add3_u32 v10, v4, v10, v11
	v_ashrrev_i32_e32 v11, 31, v10
	v_lshlrev_b64 v[10:11], 2, v[10:11]
	v_add_co_u32_e32 v10, vcc, s24, v10
	v_addc_co_u32_e32 v11, vcc, v8, v11, vcc
	global_load_dword v12, v[10:11], off
	global_load_dword v13, v[1:2], off
	v_cmp_le_i32_e32 vcc, s46, v9
	s_or_b64 s[4:5], vcc, s[4:5]
	s_waitcnt vmcnt(1)
	v_mul_f32_e32 v10, v5, v12
	s_waitcnt vmcnt(0)
	v_fmac_f32_e32 v10, s92, v13
	global_store_dword v[1:2], v10, off
	v_add_co_u32_e32 v1, vcc, 0x400, v1
	v_addc_co_u32_e32 v2, vcc, 0, v2, vcc
	s_andn2_b64 exec, exec, s[4:5]
	s_cbranch_execnz .LBB0_175
.LBB0_176:
	s_or_b64 exec, exec, s[2:3]
	s_waitcnt vmcnt(0)
	s_barrier
	s_mov_b64 s[2:3], -1
	s_and_b64 vcc, exec, s[0:1]
	s_cbranch_vccz .LBB0_171
.LBB0_177:
	v_cmp_eq_u32_e32 vcc, 0, v0
	s_and_saveexec_b64 s[0:1], vcc
	s_cbranch_execz .LBB0_179
; %bb.178:
	s_ashr_i32 s49, s48, 31
	s_lshl_b64 s[4:5], s[48:49], 2
	s_mul_i32 s2, s48, s93
	s_add_u32 s6, s26, s4
	s_addc_u32 s7, s23, s5
	s_ashr_i32 s3, s2, 31
	v_mov_b32_e32 v1, 0
	s_lshl_b64 s[2:3], s[2:3], 2
	global_load_dword v2, v1, s[6:7]
	s_add_u32 s6, s54, s2
	s_addc_u32 s7, s53, s3
	s_add_u32 s4, s21, s4
	s_addc_u32 s5, s20, s5
	global_load_dword v3, v1, s[4:5]
	s_add_u32 s2, s52, s2
	s_addc_u32 s3, s47, s3
	s_waitcnt vmcnt(1)
	global_store_dword v1, v2, s[6:7]
	s_waitcnt vmcnt(1)
	global_store_dword v1, v3, s[2:3]
.LBB0_179:
	s_or_b64 exec, exec, s[0:1]
	v_cmp_gt_i32_e32 vcc, s46, v0
	s_and_saveexec_b64 s[2:3], vcc
	s_cbranch_execz .LBB0_182
; %bb.180:
	s_ashr_i32 s49, s48, 31
	s_lshl_b64 s[0:1], s[48:49], 2
	s_add_u32 s4, s26, s0
	s_addc_u32 s5, s23, s1
	v_mov_b32_e32 v1, 0
	s_add_u32 s0, s21, s0
	s_addc_u32 s1, s20, s1
	global_load_dword v4, v1, s[4:5]
	global_load_dword v5, v1, s[0:1]
	s_abs_i32 s6, s44
	v_cvt_f32_u32_e32 v1, s6
	s_sub_i32 s0, 0, s6
	s_mov_b64 s[4:5], 0
	v_mov_b32_e32 v2, s25
	v_rcp_iflag_f32_e32 v1, v1
	s_ashr_i32 s7, s44, 31
	v_mul_f32_e32 v1, 0x4f7ffffe, v1
	v_cvt_u32_f32_e32 v3, v1
	v_mul_lo_u32 v1, s0, v3
	v_mul_hi_u32 v6, v3, v1
	v_mov_b32_e32 v1, s44
	v_add_u32_e32 v3, v3, v6
	v_mov_b32_e32 v6, s22
	s_waitcnt vmcnt(1)
	v_subrev_u32_e32 v4, 27, v4
	s_waitcnt vmcnt(0)
	v_subrev_u32_e32 v5, 26, v5
.LBB0_181:                              ; =>This Inner Loop Header: Depth=1
	v_add_u32_e32 v7, 1, v0
	v_not_b32_e32 v8, v0
	v_max_i32_e32 v8, v7, v8
	v_mul_hi_u32 v10, v8, v3
	v_ashrrev_i32_e32 v9, 31, v7
	v_xor_b32_e32 v9, s7, v9
	v_add_u32_e32 v0, 0x100, v0
	v_mul_lo_u32 v11, v10, s6
	v_add_u32_e32 v12, 1, v10
	v_sub_u32_e32 v8, v8, v11
	v_cmp_le_u32_e32 vcc, s6, v8
	v_subrev_u32_e32 v11, s6, v8
	v_cndmask_b32_e32 v10, v10, v12, vcc
	v_cndmask_b32_e32 v8, v8, v11, vcc
	v_add_u32_e32 v11, 1, v10
	v_cmp_le_u32_e32 vcc, s6, v8
	v_cndmask_b32_e32 v8, v10, v11, vcc
	v_xor_b32_e32 v8, v8, v9
	v_sub_u32_e32 v10, v8, v9
	v_mul_lo_u32 v10, v10, s44
	v_sub_u32_e32 v7, v7, v10
	v_cmp_eq_u32_e32 vcc, 0, v7
	v_subb_co_u32_e64 v9, s[0:1], v8, v9, vcc
	v_add_u32_e32 v8, v5, v9
	v_mul_lo_u32 v8, v8, s94
	v_cndmask_b32_e32 v10, v7, v1, vcc
	v_add3_u32 v7, v10, v4, v8
	v_ashrrev_i32_e32 v8, 31, v7
	v_lshlrev_b64 v[7:8], 2, v[7:8]
	v_add_co_u32_e32 v7, vcc, s24, v7
	v_addc_co_u32_e32 v8, vcc, v2, v8, vcc
	global_load_dword v11, v[7:8], off
	v_mul_lo_u32 v7, v9, s44
	v_cmp_le_i32_e32 vcc, s46, v0
	s_or_b64 s[4:5], vcc, s[4:5]
	v_ashrrev_i32_e32 v8, 31, v10
	v_ashrrev_i32_e32 v9, 31, v7
	v_add_co_u32_e32 v7, vcc, v7, v10
	v_addc_co_u32_e32 v8, vcc, v9, v8, vcc
	v_lshlrev_b64 v[7:8], 2, v[7:8]
	v_add_co_u32_e32 v7, vcc, s33, v7
	v_addc_co_u32_e32 v8, vcc, v6, v8, vcc
	s_waitcnt vmcnt(0)
	global_store_dword v[7:8], v11, off offset:-4
	s_andn2_b64 exec, exec, s[4:5]
	s_cbranch_execnz .LBB0_181
.LBB0_182:
	s_or_b64 exec, exec, s[2:3]
	s_waitcnt vmcnt(0)
	s_barrier
	s_cbranch_execz .LBB0_172
.LBB0_183:
	s_endpgm
	.section	.rodata,"a",@progbits
	.p2align	6, 0x0
	.amdhsa_kernel _Z2hwi13params_commonPKfPiS2_S2_S2_S2_S2_S2_S2_PfS3_S3_S3_S3_S3_S3_S3_S3_S3_S3_S3_S3_S3_S3_S3_S3_S3_S3_S3_S3_S3_
		.amdhsa_group_segment_fixed_size 0
		.amdhsa_private_segment_fixed_size 0
		.amdhsa_kernarg_size 640
		.amdhsa_user_sgpr_count 6
		.amdhsa_user_sgpr_private_segment_buffer 1
		.amdhsa_user_sgpr_dispatch_ptr 0
		.amdhsa_user_sgpr_queue_ptr 0
		.amdhsa_user_sgpr_kernarg_segment_ptr 1
		.amdhsa_user_sgpr_dispatch_id 0
		.amdhsa_user_sgpr_flat_scratch_init 0
		.amdhsa_user_sgpr_private_segment_size 0
		.amdhsa_uses_dynamic_stack 0
		.amdhsa_system_sgpr_private_segment_wavefront_offset 0
		.amdhsa_system_sgpr_workgroup_id_x 1
		.amdhsa_system_sgpr_workgroup_id_y 0
		.amdhsa_system_sgpr_workgroup_id_z 0
		.amdhsa_system_sgpr_workgroup_info 0
		.amdhsa_system_vgpr_workitem_id 0
		.amdhsa_next_free_vgpr 24
		.amdhsa_next_free_sgpr 96
		.amdhsa_reserve_vcc 1
		.amdhsa_reserve_flat_scratch 0
		.amdhsa_float_round_mode_32 0
		.amdhsa_float_round_mode_16_64 0
		.amdhsa_float_denorm_mode_32 3
		.amdhsa_float_denorm_mode_16_64 3
		.amdhsa_dx10_clamp 1
		.amdhsa_ieee_mode 1
		.amdhsa_fp16_overflow 0
		.amdhsa_exception_fp_ieee_invalid_op 0
		.amdhsa_exception_fp_denorm_src 0
		.amdhsa_exception_fp_ieee_div_zero 0
		.amdhsa_exception_fp_ieee_overflow 0
		.amdhsa_exception_fp_ieee_underflow 0
		.amdhsa_exception_fp_ieee_inexact 0
		.amdhsa_exception_int_div_zero 0
	.end_amdhsa_kernel
	.text
.Lfunc_end0:
	.size	_Z2hwi13params_commonPKfPiS2_S2_S2_S2_S2_S2_S2_PfS3_S3_S3_S3_S3_S3_S3_S3_S3_S3_S3_S3_S3_S3_S3_S3_S3_S3_S3_S3_S3_, .Lfunc_end0-_Z2hwi13params_commonPKfPiS2_S2_S2_S2_S2_S2_S2_PfS3_S3_S3_S3_S3_S3_S3_S3_S3_S3_S3_S3_S3_S3_S3_S3_S3_S3_S3_S3_S3_
                                        ; -- End function
	.set _Z2hwi13params_commonPKfPiS2_S2_S2_S2_S2_S2_S2_PfS3_S3_S3_S3_S3_S3_S3_S3_S3_S3_S3_S3_S3_S3_S3_S3_S3_S3_S3_S3_S3_.num_vgpr, 24
	.set _Z2hwi13params_commonPKfPiS2_S2_S2_S2_S2_S2_S2_PfS3_S3_S3_S3_S3_S3_S3_S3_S3_S3_S3_S3_S3_S3_S3_S3_S3_S3_S3_S3_S3_.num_agpr, 0
	.set _Z2hwi13params_commonPKfPiS2_S2_S2_S2_S2_S2_S2_PfS3_S3_S3_S3_S3_S3_S3_S3_S3_S3_S3_S3_S3_S3_S3_S3_S3_S3_S3_S3_S3_.numbered_sgpr, 96
	.set _Z2hwi13params_commonPKfPiS2_S2_S2_S2_S2_S2_S2_PfS3_S3_S3_S3_S3_S3_S3_S3_S3_S3_S3_S3_S3_S3_S3_S3_S3_S3_S3_S3_S3_.num_named_barrier, 0
	.set _Z2hwi13params_commonPKfPiS2_S2_S2_S2_S2_S2_S2_PfS3_S3_S3_S3_S3_S3_S3_S3_S3_S3_S3_S3_S3_S3_S3_S3_S3_S3_S3_S3_S3_.private_seg_size, 0
	.set _Z2hwi13params_commonPKfPiS2_S2_S2_S2_S2_S2_S2_PfS3_S3_S3_S3_S3_S3_S3_S3_S3_S3_S3_S3_S3_S3_S3_S3_S3_S3_S3_S3_S3_.uses_vcc, 1
	.set _Z2hwi13params_commonPKfPiS2_S2_S2_S2_S2_S2_S2_PfS3_S3_S3_S3_S3_S3_S3_S3_S3_S3_S3_S3_S3_S3_S3_S3_S3_S3_S3_S3_S3_.uses_flat_scratch, 0
	.set _Z2hwi13params_commonPKfPiS2_S2_S2_S2_S2_S2_S2_PfS3_S3_S3_S3_S3_S3_S3_S3_S3_S3_S3_S3_S3_S3_S3_S3_S3_S3_S3_S3_S3_.has_dyn_sized_stack, 0
	.set _Z2hwi13params_commonPKfPiS2_S2_S2_S2_S2_S2_S2_PfS3_S3_S3_S3_S3_S3_S3_S3_S3_S3_S3_S3_S3_S3_S3_S3_S3_S3_S3_S3_S3_.has_recursion, 0
	.set _Z2hwi13params_commonPKfPiS2_S2_S2_S2_S2_S2_S2_PfS3_S3_S3_S3_S3_S3_S3_S3_S3_S3_S3_S3_S3_S3_S3_S3_S3_S3_S3_S3_S3_.has_indirect_call, 0
	.section	.AMDGPU.csdata,"",@progbits
; Kernel info:
; codeLenInByte = 13768
; TotalNumSgprs: 100
; NumVgprs: 24
; ScratchSize: 0
; MemoryBound: 0
; FloatMode: 240
; IeeeMode: 1
; LDSByteSize: 0 bytes/workgroup (compile time only)
; SGPRBlocks: 12
; VGPRBlocks: 5
; NumSGPRsForWavesPerEU: 100
; NumVGPRsForWavesPerEU: 24
; Occupancy: 8
; WaveLimiterHint : 1
; COMPUTE_PGM_RSRC2:SCRATCH_EN: 0
; COMPUTE_PGM_RSRC2:USER_SGPR: 6
; COMPUTE_PGM_RSRC2:TRAP_HANDLER: 0
; COMPUTE_PGM_RSRC2:TGID_X_EN: 1
; COMPUTE_PGM_RSRC2:TGID_Y_EN: 0
; COMPUTE_PGM_RSRC2:TGID_Z_EN: 0
; COMPUTE_PGM_RSRC2:TIDIG_COMP_CNT: 0
	.section	.AMDGPU.gpr_maximums,"",@progbits
	.set amdgpu.max_num_vgpr, 0
	.set amdgpu.max_num_agpr, 0
	.set amdgpu.max_num_sgpr, 0
	.section	.AMDGPU.csdata,"",@progbits
	.type	__hip_cuid_562f61382e8c4f91,@object ; @__hip_cuid_562f61382e8c4f91
	.section	.bss,"aw",@nobits
	.globl	__hip_cuid_562f61382e8c4f91
__hip_cuid_562f61382e8c4f91:
	.byte	0                               ; 0x0
	.size	__hip_cuid_562f61382e8c4f91, 1

	.ident	"AMD clang version 22.0.0git (https://github.com/RadeonOpenCompute/llvm-project roc-7.2.4 26084 f58b06dce1f9c15707c5f808fd002e18c2accf7e)"
	.section	".note.GNU-stack","",@progbits
	.addrsig
	.addrsig_sym __hip_cuid_562f61382e8c4f91
	.amdgpu_metadata
---
amdhsa.kernels:
  - .args:
      - .offset:         0
        .size:           4
        .value_kind:     by_value
      - .offset:         4
        .size:           388
        .value_kind:     by_value
      - .actual_access:  read_only
        .address_space:  global
        .offset:         392
        .size:           8
        .value_kind:     global_buffer
      - .address_space:  global
        .offset:         400
        .size:           8
        .value_kind:     global_buffer
      - .address_space:  global
        .offset:         408
        .size:           8
        .value_kind:     global_buffer
      - .address_space:  global
        .offset:         416
        .size:           8
        .value_kind:     global_buffer
      - .address_space:  global
        .offset:         424
        .size:           8
        .value_kind:     global_buffer
      - .address_space:  global
        .offset:         432
        .size:           8
        .value_kind:     global_buffer
      - .address_space:  global
        .offset:         440
        .size:           8
        .value_kind:     global_buffer
      - .address_space:  global
        .offset:         448
        .size:           8
        .value_kind:     global_buffer
      - .address_space:  global
        .offset:         456
        .size:           8
        .value_kind:     global_buffer
      - .address_space:  global
        .offset:         464
        .size:           8
        .value_kind:     global_buffer
      - .address_space:  global
        .offset:         472
        .size:           8
        .value_kind:     global_buffer
      - .address_space:  global
        .offset:         480
        .size:           8
        .value_kind:     global_buffer
      - .address_space:  global
        .offset:         488
        .size:           8
        .value_kind:     global_buffer
      - .address_space:  global
        .offset:         496
        .size:           8
        .value_kind:     global_buffer
      - .address_space:  global
        .offset:         504
        .size:           8
        .value_kind:     global_buffer
      - .address_space:  global
        .offset:         512
        .size:           8
        .value_kind:     global_buffer
      - .address_space:  global
        .offset:         520
        .size:           8
        .value_kind:     global_buffer
      - .address_space:  global
        .offset:         528
        .size:           8
        .value_kind:     global_buffer
      - .address_space:  global
        .offset:         536
        .size:           8
        .value_kind:     global_buffer
      - .address_space:  global
        .offset:         544
        .size:           8
        .value_kind:     global_buffer
      - .address_space:  global
        .offset:         552
        .size:           8
        .value_kind:     global_buffer
      - .address_space:  global
        .offset:         560
        .size:           8
        .value_kind:     global_buffer
      - .address_space:  global
        .offset:         568
        .size:           8
        .value_kind:     global_buffer
      - .address_space:  global
        .offset:         576
        .size:           8
        .value_kind:     global_buffer
      - .address_space:  global
        .offset:         584
        .size:           8
        .value_kind:     global_buffer
      - .address_space:  global
        .offset:         592
        .size:           8
        .value_kind:     global_buffer
      - .address_space:  global
        .offset:         600
        .size:           8
        .value_kind:     global_buffer
      - .address_space:  global
        .offset:         608
        .size:           8
        .value_kind:     global_buffer
      - .address_space:  global
        .offset:         616
        .size:           8
        .value_kind:     global_buffer
      - .address_space:  global
        .offset:         624
        .size:           8
        .value_kind:     global_buffer
      - .address_space:  global
        .offset:         632
        .size:           8
        .value_kind:     global_buffer
    .group_segment_fixed_size: 0
    .kernarg_segment_align: 8
    .kernarg_segment_size: 640
    .language:       OpenCL C
    .language_version:
      - 2
      - 0
    .max_flat_workgroup_size: 1024
    .name:           _Z2hwi13params_commonPKfPiS2_S2_S2_S2_S2_S2_S2_PfS3_S3_S3_S3_S3_S3_S3_S3_S3_S3_S3_S3_S3_S3_S3_S3_S3_S3_S3_S3_S3_
    .private_segment_fixed_size: 0
    .sgpr_count:     100
    .sgpr_spill_count: 68
    .symbol:         _Z2hwi13params_commonPKfPiS2_S2_S2_S2_S2_S2_S2_PfS3_S3_S3_S3_S3_S3_S3_S3_S3_S3_S3_S3_S3_S3_S3_S3_S3_S3_S3_S3_S3_.kd
    .uniform_work_group_size: 1
    .uses_dynamic_stack: false
    .vgpr_count:     24
    .vgpr_spill_count: 0
    .wavefront_size: 64
amdhsa.target:   amdgcn-amd-amdhsa--gfx906
amdhsa.version:
  - 1
  - 2
...

	.end_amdgpu_metadata
